;; amdgpu-corpus repo=zjin-lcf/HeCBench kind=compiled arch=gfx1030 opt=O3
	.amdgcn_target "amdgcn-amd-amdhsa--gfx1030"
	.amdhsa_code_object_version 6
	.text
	.protected	_Z20calculateForceKernelP6atom_tidPKdS2_idiid ; -- Begin function _Z20calculateForceKernelP6atom_tidPKdS2_idiid
	.globl	_Z20calculateForceKernelP6atom_tidPKdS2_idiid
	.p2align	8
	.type	_Z20calculateForceKernelP6atom_tidPKdS2_idiid,@function
_Z20calculateForceKernelP6atom_tidPKdS2_idiid: ; @_Z20calculateForceKernelP6atom_tidPKdS2_idiid
; %bb.0:
	s_load_dword s0, s[4:5], 0x54
                                        ; implicit-def: $vgpr81 : SGPR spill to VGPR lane
	v_writelane_b32 v81, s4, 0
	s_load_dword s104, s[4:5], 0x8
	v_writelane_b32 v81, s5, 1
	s_waitcnt lgkmcnt(0)
	s_and_b32 s0, s0, 0xffff
	v_mad_u64_u32 v[36:37], null, s6, s0, v[0:1]
	s_mov_b32 s0, exec_lo
	v_cmpx_gt_i32_e64 s104, v36
	s_cbranch_execz .LBB0_121
; %bb.1:
	v_readlane_b32 s2, v81, 0
	v_readlane_b32 s3, v81, 1
	s_clause 0x1
	s_load_dwordx2 s[0:1], s[2:3], 0x0
	s_load_dwordx4 s[4:7], s[2:3], 0x10
	s_waitcnt lgkmcnt(0)
	v_writelane_b32 v81, s4, 2
	v_writelane_b32 v81, s5, 3
	v_writelane_b32 v81, s6, 4
	v_writelane_b32 v81, s7, 5
	v_writelane_b32 v81, s0, 6
	v_mad_i64_i32 v[32:33], null, 0x70, v36, s[0:1]
	s_clause 0x5
	global_load_dwordx4 v[12:15], v[32:33], off offset:16
	global_load_dwordx4 v[16:19], v[32:33], off
	global_load_dwordx4 v[20:23], v[32:33], off offset:32
	global_load_dwordx2 v[34:35], v[32:33], off offset:72
	global_load_dwordx4 v[24:27], v[32:33], off offset:96
	global_load_dwordx4 v[28:31], v[32:33], off offset:80
	s_clause 0x1
	s_load_dword s36, s[2:3], 0x28
	s_load_dwordx2 s[52:53], s[2:3], 0x20
	v_writelane_b32 v81, s1, 7
	s_waitcnt lgkmcnt(0)
	s_cmp_gt_u32 s36, 2
	s_cbranch_scc0 .LBB0_4
; %bb.2:
	s_add_i32 s0, s36, -1
	s_cmp_gt_u32 s0, 1
	s_cbranch_scc0 .LBB0_35
.LBB0_3:
	s_cmp_lg_u32 s36, 2
	s_cbranch_scc0 .LBB0_92
	s_branch .LBB0_121
.LBB0_4:
	v_mov_b32_e32 v4, 0
	v_mov_b32_e32 v6, 0
	;; [unrolled: 1-line block ×3, first 2 shown]
	v_add_nc_u32_e32 v51, 1, v36
	v_mov_b32_e32 v5, 0
	v_mov_b32_e32 v7, 0
	;; [unrolled: 1-line block ×3, first 2 shown]
	s_mov_b32 s2, exec_lo
	v_cmpx_gt_i32_e64 s104, v51
	s_cbranch_execz .LBB0_28
; %bb.5:
	v_mov_b32_e32 v8, 0
	v_mov_b32_e32 v6, 0
	;; [unrolled: 1-line block ×3, first 2 shown]
	s_waitcnt vmcnt(2)
	v_cmp_eq_u32_e64 s3, 0, v35
	v_mov_b32_e32 v9, 0
	v_mov_b32_e32 v7, 0
	;; [unrolled: 1-line block ×3, first 2 shown]
	v_cmp_ne_u32_e64 s0, 0, v35
	s_mov_b32 s4, 0
	s_branch .LBB0_10
.LBB0_6:                                ;   in Loop: Header=BB0_10 Depth=1
	s_or_b32 exec_lo, exec_lo, s8
.LBB0_7:                                ;   in Loop: Header=BB0_10 Depth=1
	s_or_b32 exec_lo, exec_lo, s7
.LBB0_8:                                ;   in Loop: Header=BB0_10 Depth=1
	s_or_b32 exec_lo, exec_lo, s6
.LBB0_9:                                ;   in Loop: Header=BB0_10 Depth=1
	s_or_b32 exec_lo, exec_lo, s5
	v_add_nc_u32_e32 v51, 1, v51
	v_cmp_le_i32_e32 vcc_lo, s104, v51
	s_or_b32 s4, vcc_lo, s4
	s_andn2_b32 exec_lo, exec_lo, s4
	s_cbranch_execz .LBB0_27
.LBB0_10:                               ; =>This Loop Header: Depth=1
                                        ;     Child Loop BB0_21 Depth 2
                                        ;     Child Loop BB0_23 Depth 2
	;; [unrolled: 1-line block ×3, first 2 shown]
	v_readlane_b32 s6, v81, 0
	v_readlane_b32 s7, v81, 1
	s_mov_b32 s5, exec_lo
	s_load_dwordx2 s[6:7], s[6:7], 0x0
	s_waitcnt lgkmcnt(0)
	v_mad_i64_i32 v[10:11], null, 0x70, v51, s[6:7]
	global_load_dword v0, v[10:11], off offset:72
	s_waitcnt vmcnt(0)
	v_cmpx_ne_u32_e64 v34, v0
	s_cbranch_execz .LBB0_9
; %bb.11:                               ;   in Loop: Header=BB0_10 Depth=1
	s_mov_b32 s1, s3
	s_and_saveexec_b32 s6, s0
	s_cbranch_execz .LBB0_13
; %bb.12:                               ;   in Loop: Header=BB0_10 Depth=1
	global_load_dword v0, v[10:11], off offset:76
	s_andn2_b32 s1, s3, exec_lo
	s_waitcnt vmcnt(0)
	v_cmp_eq_u32_e32 vcc_lo, 0, v0
	s_and_b32 s7, vcc_lo, exec_lo
	s_or_b32 s1, s1, s7
.LBB0_13:                               ;   in Loop: Header=BB0_10 Depth=1
	s_or_b32 exec_lo, exec_lo, s6
	s_and_saveexec_b32 s6, s1
	s_cbranch_execz .LBB0_8
; %bb.14:                               ;   in Loop: Header=BB0_10 Depth=1
	global_load_dwordx2 v[2:3], v[10:11], off offset:32
	v_mov_b32_e32 v0, v20
	v_mov_b32_e32 v1, v21
	s_mov_b32 s1, exec_lo
	s_waitcnt vmcnt(0)
	v_cmpx_neq_f64_e32 v[20:21], v[2:3]
	s_cbranch_execz .LBB0_16
; %bb.15:                               ;   in Loop: Header=BB0_10 Depth=1
	v_add_f64 v[0:1], v[20:21], v[2:3]
	v_mul_f64 v[0:1], v[0:1], 0.5
.LBB0_16:                               ;   in Loop: Header=BB0_10 Depth=1
	s_or_b32 exec_lo, exec_lo, s1
	global_load_dwordx2 v[2:3], v[10:11], off offset:24
	s_waitcnt vmcnt(0)
	v_mul_f64 v[37:38], v[14:15], v[2:3]
	v_cmp_gt_f64_e32 vcc_lo, 0x10000000, v[37:38]
	v_cndmask_b32_e64 v39, 0, 0x100, vcc_lo
	v_ldexp_f64 v[37:38], v[37:38], v39
	v_rsq_f64_e32 v[39:40], v[37:38]
	v_mul_f64 v[41:42], v[37:38], v[39:40]
	v_mul_f64 v[39:40], v[39:40], 0.5
	v_fma_f64 v[43:44], -v[39:40], v[41:42], 0.5
	v_fma_f64 v[41:42], v[41:42], v[43:44], v[41:42]
	v_fma_f64 v[39:40], v[39:40], v[43:44], v[39:40]
	v_fma_f64 v[43:44], -v[41:42], v[41:42], v[37:38]
	v_fma_f64 v[41:42], v[43:44], v[39:40], v[41:42]
	v_fma_f64 v[43:44], -v[41:42], v[41:42], v[37:38]
	v_fma_f64 v[39:40], v[43:44], v[39:40], v[41:42]
	v_cndmask_b32_e64 v41, 0, 0xffffff80, vcc_lo
	v_cmp_class_f64_e64 vcc_lo, v[37:38], 0x260
	v_ldexp_f64 v[39:40], v[39:40], v41
	v_cndmask_b32_e32 v37, v39, v37, vcc_lo
	v_cndmask_b32_e32 v38, v40, v38, vcc_lo
	v_cmp_neq_f64_e32 vcc_lo, v[14:15], v[2:3]
	v_cndmask_b32_e32 v38, v15, v38, vcc_lo
	v_cndmask_b32_e32 v37, v14, v37, vcc_lo
	v_cmp_neq_f64_e32 vcc_lo, 0, v[0:1]
	v_cmp_neq_f64_e64 s1, 0, v[37:38]
	s_and_b32 s1, vcc_lo, s1
	s_and_saveexec_b32 s7, s1
	s_cbranch_execz .LBB0_7
; %bb.17:                               ;   in Loop: Header=BB0_10 Depth=1
	s_clause 0x1
	global_load_dwordx4 v[39:42], v[10:11], off
	global_load_dwordx2 v[43:44], v[10:11], off offset:16
	s_clause 0x1
	s_load_dwordx16 s[8:23], s[52:53], 0x0
	s_load_dwordx2 s[24:25], s[52:53], 0x40
	s_mov_b32 s1, exec_lo
	s_waitcnt vmcnt(1)
	v_add_f64 v[2:3], v[16:17], -v[39:40]
	v_add_f64 v[47:48], v[18:19], -v[41:42]
	s_waitcnt vmcnt(0)
	v_add_f64 v[49:50], v[12:13], -v[43:44]
	s_waitcnt lgkmcnt(0)
	v_fma_f64 v[39:40], s[8:9], v[2:3], 0
	v_fma_f64 v[41:42], s[14:15], v[2:3], 0
	v_readlane_b32 s8, v81, 0
	v_readlane_b32 s9, v81, 1
	v_fma_f64 v[43:44], s[20:21], v[2:3], 0
	s_load_dwordx4 s[28:31], s[8:9], 0x10
	v_fma_f64 v[39:40], s[10:11], v[47:48], v[39:40]
	v_fma_f64 v[41:42], s[16:17], v[47:48], v[41:42]
	;; [unrolled: 1-line block ×5, first 2 shown]
	s_waitcnt lgkmcnt(0)
	s_load_dwordx16 s[8:23], s[30:31], 0x0
	v_fma_f64 v[43:44], s[24:25], v[49:50], v[43:44]
	v_rndne_f64_e32 v[39:40], v[39:40]
	v_rndne_f64_e32 v[41:42], v[41:42]
	v_rndne_f64_e32 v[54:55], v[43:44]
	s_waitcnt lgkmcnt(0)
	v_fma_f64 v[45:46], v[39:40], s[14:15], 0
	v_fma_f64 v[52:53], v[39:40], s[8:9], 0
	;; [unrolled: 1-line block ×3, first 2 shown]
	s_load_dwordx2 s[8:9], s[30:31], 0x40
	v_fma_f64 v[43:44], v[41:42], s[16:17], v[45:46]
	v_fma_f64 v[45:46], v[41:42], s[10:11], v[52:53]
	;; [unrolled: 1-line block ×5, first 2 shown]
	s_waitcnt lgkmcnt(0)
	v_fma_f64 v[39:40], v[54:55], s[8:9], v[39:40]
	v_add_f64 v[41:42], v[47:48], -v[43:44]
	v_add_f64 v[43:44], v[2:3], -v[45:46]
	;; [unrolled: 1-line block ×3, first 2 shown]
	v_mul_f64 v[45:46], v[41:42], v[41:42]
	v_fma_f64 v[45:46], v[43:44], v[43:44], v[45:46]
	v_fma_f64 v[45:46], v[39:40], v[39:40], v[45:46]
	v_cmpx_nle_f64_e32 0, v[45:46]
	s_cbranch_execz .LBB0_19
; %bb.18:                               ;   in Loop: Header=BB0_10 Depth=1
	v_mul_f64 v[39:40], v[47:48], v[47:48]
	v_mov_b32_e32 v44, v3
	v_mov_b32_e32 v41, v47
	;; [unrolled: 1-line block ×4, first 2 shown]
	v_fma_f64 v[39:40], v[2:3], v[2:3], v[39:40]
	v_fma_f64 v[45:46], v[49:50], v[49:50], v[39:40]
	v_mov_b32_e32 v39, v49
	v_mov_b32_e32 v40, v50
.LBB0_19:                               ;   in Loop: Header=BB0_10 Depth=1
	s_or_b32 exec_lo, exec_lo, s1
	v_cmp_gt_f64_e32 vcc_lo, 0x10000000, v[45:46]
	v_readlane_b32 s8, v81, 0
	v_readlane_b32 s9, v81, 1
	s_load_dwordx4 s[8:11], s[8:9], 0x10
	v_cndmask_b32_e64 v2, 0, 0x100, vcc_lo
	v_ldexp_f64 v[2:3], v[45:46], v2
	v_rsq_f64_e32 v[47:48], v[2:3]
	v_mul_f64 v[49:50], v[2:3], v[47:48]
	v_mul_f64 v[47:48], v[47:48], 0.5
	v_fma_f64 v[52:53], -v[47:48], v[49:50], 0.5
	v_fma_f64 v[49:50], v[49:50], v[52:53], v[49:50]
	v_fma_f64 v[47:48], v[47:48], v[52:53], v[47:48]
	v_fma_f64 v[52:53], -v[49:50], v[49:50], v[2:3]
	v_fma_f64 v[49:50], v[52:53], v[47:48], v[49:50]
	v_fma_f64 v[52:53], -v[49:50], v[49:50], v[2:3]
	v_fma_f64 v[47:48], v[52:53], v[47:48], v[49:50]
	v_cndmask_b32_e64 v49, 0, 0xffffff80, vcc_lo
	v_cmp_class_f64_e64 vcc_lo, v[2:3], 0x260
	v_ldexp_f64 v[47:48], v[47:48], v49
	v_cndmask_b32_e32 v3, v48, v3, vcc_lo
	v_cndmask_b32_e32 v2, v47, v2, vcc_lo
	s_waitcnt lgkmcnt(0)
	v_cmp_ge_f64_e32 vcc_lo, s[8:9], v[2:3]
	s_and_saveexec_b32 s8, vcc_lo
	s_cbranch_execz .LBB0_6
; %bb.20:                               ;   in Loop: Header=BB0_10 Depth=1
	v_mul_f64 v[0:1], v[0:1], v[0:1]
	v_mul_f64 v[2:3], v[45:46], v[45:46]
	;; [unrolled: 1-line block ×5, first 2 shown]
	global_load_dwordx2 v[2:3], v[10:11], off offset:48
	v_mul_f64 v[0:1], v[0:1], v[47:48]
	v_mul_f64 v[47:48], v[49:50], v[49:50]
	;; [unrolled: 1-line block ×5, first 2 shown]
	v_add_f64 v[52:53], v[52:53], v[52:53]
	v_div_scale_f64 v[54:55], null, v[45:46], v[45:46], v[0:1]
	v_div_scale_f64 v[49:50], null, v[47:48], v[47:48], v[52:53]
	v_rcp_f64_e32 v[58:59], v[54:55]
	v_div_scale_f64 v[64:65], vcc_lo, v[52:53], v[47:48], v[52:53]
	v_rcp_f64_e32 v[56:57], v[49:50]
	v_fma_f64 v[62:63], -v[54:55], v[58:59], 1.0
	v_fma_f64 v[60:61], -v[49:50], v[56:57], 1.0
	v_fma_f64 v[58:59], v[58:59], v[62:63], v[58:59]
	v_fma_f64 v[56:57], v[56:57], v[60:61], v[56:57]
	v_fma_f64 v[62:63], -v[54:55], v[58:59], 1.0
	v_fma_f64 v[60:61], -v[49:50], v[56:57], 1.0
	v_fma_f64 v[58:59], v[58:59], v[62:63], v[58:59]
	v_fma_f64 v[56:57], v[56:57], v[60:61], v[56:57]
	v_div_scale_f64 v[60:61], s1, v[0:1], v[45:46], v[0:1]
	v_mul_f64 v[62:63], v[64:65], v[56:57]
	v_mul_f64 v[66:67], v[60:61], v[58:59]
	v_fma_f64 v[49:50], -v[49:50], v[62:63], v[64:65]
	v_fma_f64 v[54:55], -v[54:55], v[66:67], v[60:61]
	v_div_fmas_f64 v[49:50], v[49:50], v[56:57], v[62:63]
	s_mov_b32 vcc_lo, s1
	s_mov_b32 s1, 0
	v_div_fmas_f64 v[54:55], v[54:55], v[58:59], v[66:67]
	v_div_fixup_f64 v[47:48], v[49:50], v[47:48], v[52:53]
	v_div_fixup_f64 v[0:1], v[54:55], v[45:46], v[0:1]
	v_add_f64 v[45:46], v[47:48], -v[0:1]
	v_mul_f64 v[0:1], v[37:38], v[43:44]
	v_mul_f64 v[43:44], v[45:46], v[0:1]
.LBB0_21:                               ;   Parent Loop BB0_10 Depth=1
                                        ; =>  This Inner Loop Header: Depth=2
	s_waitcnt vmcnt(0)
	v_add_f64 v[0:1], v[2:3], -v[43:44]
	global_atomic_cmpswap_x2 v[0:1], v[10:11], v[0:3], off offset:48 glc
	s_waitcnt vmcnt(0)
	v_cmp_eq_u64_e32 vcc_lo, v[0:1], v[2:3]
	v_mov_b32_e32 v3, v1
	v_mov_b32_e32 v2, v0
	s_or_b32 s1, vcc_lo, s1
	s_andn2_b32 exec_lo, exec_lo, s1
	s_cbranch_execnz .LBB0_21
; %bb.22:                               ;   in Loop: Header=BB0_10 Depth=1
	s_or_b32 exec_lo, exec_lo, s1
	global_load_dwordx2 v[2:3], v[10:11], off offset:56
	v_mul_f64 v[0:1], 0x40380000, v[41:42]
	s_mov_b32 s1, 0
	v_mul_f64 v[0:1], v[37:38], v[0:1]
	v_mul_f64 v[41:42], v[45:46], v[0:1]
.LBB0_23:                               ;   Parent Loop BB0_10 Depth=1
                                        ; =>  This Inner Loop Header: Depth=2
	s_waitcnt vmcnt(0)
	v_add_f64 v[0:1], v[2:3], -v[41:42]
	global_atomic_cmpswap_x2 v[0:1], v[10:11], v[0:3], off offset:56 glc
	s_waitcnt vmcnt(0)
	v_cmp_eq_u64_e32 vcc_lo, v[0:1], v[2:3]
	v_mov_b32_e32 v3, v1
	v_mov_b32_e32 v2, v0
	s_or_b32 s1, vcc_lo, s1
	s_andn2_b32 exec_lo, exec_lo, s1
	s_cbranch_execnz .LBB0_23
; %bb.24:                               ;   in Loop: Header=BB0_10 Depth=1
	s_or_b32 exec_lo, exec_lo, s1
	global_load_dwordx2 v[2:3], v[10:11], off offset:64
	v_mul_f64 v[0:1], 0x40380000, v[39:40]
	s_mov_b32 s1, 0
	v_mul_f64 v[0:1], v[37:38], v[0:1]
	v_mul_f64 v[37:38], v[45:46], v[0:1]
.LBB0_25:                               ;   Parent Loop BB0_10 Depth=1
                                        ; =>  This Inner Loop Header: Depth=2
	s_waitcnt vmcnt(0)
	v_add_f64 v[0:1], v[2:3], -v[37:38]
	global_atomic_cmpswap_x2 v[0:1], v[10:11], v[0:3], off offset:64 glc
	s_waitcnt vmcnt(0)
	v_cmp_eq_u64_e32 vcc_lo, v[0:1], v[2:3]
	v_mov_b32_e32 v3, v1
	v_mov_b32_e32 v2, v0
	s_or_b32 s1, vcc_lo, s1
	s_andn2_b32 exec_lo, exec_lo, s1
	s_cbranch_execnz .LBB0_25
; %bb.26:                               ;   in Loop: Header=BB0_10 Depth=1
	s_or_b32 exec_lo, exec_lo, s1
	v_add_f64 v[6:7], v[6:7], v[41:42]
	v_add_f64 v[8:9], v[8:9], v[43:44]
	;; [unrolled: 1-line block ×3, first 2 shown]
	s_branch .LBB0_6
.LBB0_27:
	s_or_b32 exec_lo, exec_lo, s4
.LBB0_28:
	s_or_b32 exec_lo, exec_lo, s2
	global_load_dwordx2 v[2:3], v[32:33], off offset:48
	s_mov_b32 s0, 0
.LBB0_29:                               ; =>This Inner Loop Header: Depth=1
	s_waitcnt vmcnt(0)
	v_add_f64 v[0:1], v[2:3], v[8:9]
	global_atomic_cmpswap_x2 v[0:1], v[32:33], v[0:3], off offset:48 glc
	s_waitcnt vmcnt(0)
	v_cmp_eq_u64_e32 vcc_lo, v[0:1], v[2:3]
	v_mov_b32_e32 v3, v1
	v_mov_b32_e32 v2, v0
	s_or_b32 s0, vcc_lo, s0
	s_andn2_b32 exec_lo, exec_lo, s0
	s_cbranch_execnz .LBB0_29
; %bb.30:
	s_or_b32 exec_lo, exec_lo, s0
	global_load_dwordx2 v[2:3], v[32:33], off offset:56
	s_mov_b32 s0, 0
.LBB0_31:                               ; =>This Inner Loop Header: Depth=1
	s_waitcnt vmcnt(0)
	v_add_f64 v[0:1], v[2:3], v[6:7]
	global_atomic_cmpswap_x2 v[0:1], v[32:33], v[0:3], off offset:56 glc
	s_waitcnt vmcnt(0)
	v_cmp_eq_u64_e32 vcc_lo, v[0:1], v[2:3]
	v_mov_b32_e32 v3, v1
	v_mov_b32_e32 v2, v0
	s_or_b32 s0, vcc_lo, s0
	s_andn2_b32 exec_lo, exec_lo, s0
	s_cbranch_execnz .LBB0_31
; %bb.32:
	;; [unrolled: 15-line block ×3, first 2 shown]
	s_or_b32 exec_lo, exec_lo, s0
	s_add_i32 s0, s36, -1
	s_cmp_gt_u32 s0, 1
	s_cbranch_scc1 .LBB0_3
.LBB0_35:
	s_cmp_lt_i32 s104, 1
	s_mov_b32 s55, 0
	s_cbranch_scc1 .LBB0_84
; %bb.36:
	v_readlane_b32 s4, v81, 0
	v_readlane_b32 s5, v81, 1
	s_mov_b32 s56, 0x652b82fe
	s_mov_b32 s58, 0xfefa39ef
	;; [unrolled: 1-line block ×4, first 2 shown]
	s_clause 0x1
	s_load_dwordx4 s[0:3], s[4:5], 0x10
	s_load_dwordx4 s[28:31], s[4:5], 0x30
	s_mov_b32 s64, 0x6a5dcb37
	s_mov_b32 s66, 0x623fde64
	;; [unrolled: 1-line block ×18, first 2 shown]
	s_waitcnt lgkmcnt(0)
	s_clause 0x1
	s_load_dwordx16 s[8:23], s[2:3], 0x0
	s_load_dwordx2 s[0:1], s[2:3], 0x40
	s_cmp_lg_u32 s31, 0
	s_waitcnt vmcnt(5)
	v_mul_f64 v[14:15], s[28:29], -s[28:29]
	s_cselect_b32 s2, -1, 0
	s_cmp_gt_i32 s30, -1
	v_writelane_b32 v81, s2, 8
	s_cselect_b32 vcc_hi, -1, 0
	s_mov_b32 s3, 0x402921fb
	s_waitcnt vmcnt(2)
	v_cmp_ne_u32_e64 s31, 0, v35
	s_mov_b32 s24, 0xf9a43bb8
	s_mov_b32 s26, 0x796cde01
	;; [unrolled: 1-line block ×10, first 2 shown]
	s_waitcnt lgkmcnt(0)
	v_mul_f64 v[2:3], s[22:23], s[18:19]
	v_mul_f64 v[0:1], s[0:1], s[10:11]
	;; [unrolled: 1-line block ×3, first 2 shown]
	s_mov_b32 s71, 0x3f2a01a0
	s_mov_b32 s73, 0x3f56c16c
	;; [unrolled: 1-line block ×18, first 2 shown]
	s_sub_i32 s33, 0, s30
	v_fma_f64 v[2:3], s[16:17], s[0:1], -v[2:3]
	v_fma_f64 v[0:1], s[22:23], s[12:13], -v[0:1]
	;; [unrolled: 1-line block ×3, first 2 shown]
	s_mov_b32 s0, 0xb42fdfa7
	s_mov_b32 s1, 0xbe5ae600
	;; [unrolled: 1-line block ×9, first 2 shown]
	v_mul_f64 v[0:1], s[14:15], v[0:1]
	v_fma_f64 v[0:1], s[8:9], v[2:3], v[0:1]
	v_fma_f64 v[37:38], s[20:21], v[4:5], v[0:1]
	v_div_scale_f64 v[0:1], null, v[37:38], v[37:38], 1.0
	v_rcp_f64_e32 v[2:3], v[0:1]
	v_fma_f64 v[4:5], -v[0:1], v[2:3], 1.0
	v_fma_f64 v[2:3], v[2:3], v[4:5], v[2:3]
	v_fma_f64 v[4:5], -v[0:1], v[2:3], 1.0
	v_fma_f64 v[2:3], v[2:3], v[4:5], v[2:3]
	v_div_scale_f64 v[4:5], vcc_lo, 1.0, v[37:38], 1.0
	v_mul_f64 v[6:7], v[4:5], v[2:3]
	v_fma_f64 v[0:1], -v[0:1], v[6:7], v[4:5]
	v_div_fmas_f64 v[39:40], v[0:1], v[2:3], v[6:7]
	v_cmp_eq_f64_e32 vcc_lo, 0, v[22:23]
	v_mov_b32_e32 v6, 0
	v_mov_b32_e32 v7, v6
	;; [unrolled: 1-line block ×12, first 2 shown]
	v_mul_f64 v[7:8], s[28:29], 4.0
	v_div_fixup_f64 v[37:38], v[39:40], v[37:38], 1.0
	s_xor_b32 s2, vcc_lo, -1
	v_writelane_b32 v81, s2, 9
	v_cmp_neq_f64_e64 s2, 0, v[22:23]
	v_mul_f64 v[20:21], s[28:29], v[7:8]
	v_writelane_b32 v81, s2, 10
	v_writelane_b32 v81, s2, 11
	;; [unrolled: 1-line block ×4, first 2 shown]
	s_branch .LBB0_41
.LBB0_37:                               ;   in Loop: Header=BB0_41 Depth=1
	v_readlane_b32 s36, v81, 13
.LBB0_38:                               ;   in Loop: Header=BB0_41 Depth=1
	v_readlane_b32 s2, v81, 14
	s_or_b32 exec_lo, exec_lo, s2
.LBB0_39:                               ;   in Loop: Header=BB0_41 Depth=1
	s_or_b32 exec_lo, exec_lo, s38
.LBB0_40:                               ;   in Loop: Header=BB0_41 Depth=1
	s_or_b32 exec_lo, exec_lo, s51
	s_add_i32 s50, s50, 1
	s_cmp_eq_u32 s50, s104
	s_cbranch_scc1 .LBB0_85
.LBB0_41:                               ; =>This Loop Header: Depth=1
                                        ;     Child Loop BB0_54 Depth 2
                                        ;     Child Loop BB0_56 Depth 2
	;; [unrolled: 1-line block ×4, first 2 shown]
                                        ;       Child Loop BB0_68 Depth 3
                                        ;         Child Loop BB0_70 Depth 4
                                        ;           Child Loop BB0_76 Depth 5
                                        ;       Child Loop BB0_82 Depth 3
	s_mov_b32 s2, 0
	s_and_saveexec_b32 s3, s31
	s_xor_b32 s3, exec_lo, s3
	s_cbranch_execz .LBB0_43
; %bb.42:                               ;   in Loop: Header=BB0_41 Depth=1
	v_readlane_b32 s6, v81, 0
	v_readlane_b32 s7, v81, 1
	s_mul_i32 s2, s50, 0x70
	s_mul_hi_u32 s5, s50, 0x70
	s_mov_b32 s51, s55
	s_load_dwordx2 s[6:7], s[6:7], 0x0
	s_waitcnt lgkmcnt(0)
	s_add_u32 s4, s6, s2
	s_addc_u32 s5, s7, s5
	v_readlane_b32 s2, v81, 9
	global_load_dword v7, v6, s[4:5] offset:76
	s_waitcnt vmcnt(0)
	v_cmp_eq_u32_e32 vcc_lo, 0, v7
	s_and_b32 s2, vcc_lo, s2
	s_and_b32 s2, s2, exec_lo
.LBB0_43:                               ;   in Loop: Header=BB0_41 Depth=1
	s_or_saveexec_b32 s3, s3
	v_mov_b32_e32 v7, s50
	v_mov_b32_e32 v8, s51
	s_xor_b32 exec_lo, exec_lo, s3
	s_cbranch_execz .LBB0_47
; %bb.44:                               ;   in Loop: Header=BB0_41 Depth=1
	s_mov_b32 s4, s2
	s_mov_b32 s5, exec_lo
	v_readlane_b32 s6, v81, 10
	s_and_b32 s6, s5, s6
	s_mov_b32 exec_lo, s6
; %bb.45:                               ;   in Loop: Header=BB0_41 Depth=1
	s_mov_b32 s51, s55
	s_or_b32 s4, s2, exec_lo
; %bb.46:                               ;   in Loop: Header=BB0_41 Depth=1
	s_or_b32 exec_lo, exec_lo, s5
	v_mov_b32_e32 v7, s50
	v_mov_b32_e32 v8, s51
	s_andn2_b32 s2, s2, exec_lo
	s_and_b32 s4, s4, exec_lo
	s_or_b32 s2, s2, s4
.LBB0_47:                               ;   in Loop: Header=BB0_41 Depth=1
	s_or_b32 exec_lo, exec_lo, s3
	s_and_saveexec_b32 s51, s2
	s_cbranch_execz .LBB0_40
; %bb.48:                               ;   in Loop: Header=BB0_41 Depth=1
	v_readlane_b32 s2, v81, 0
	v_readlane_b32 s3, v81, 1
	s_load_dwordx2 s[2:3], s[2:3], 0x0
	s_waitcnt lgkmcnt(0)
	v_mad_u64_u32 v[39:40], null, 0x70, v7, s[2:3]
	v_cmp_ne_u32_e64 s2, s50, v36
	v_mov_b32_e32 v7, v40
	v_mad_u64_u32 v[7:8], null, 0x70, v8, v[7:8]
	v_mov_b32_e32 v40, v7
	global_load_dwordx2 v[7:8], v[39:40], off offset:40
	s_waitcnt vmcnt(0)
	v_cmp_neq_f64_e32 vcc_lo, 0, v[7:8]
	s_and_b32 s2, s2, vcc_lo
	s_and_saveexec_b32 s38, s2
	s_cbranch_execz .LBB0_39
; %bb.49:                               ;   in Loop: Header=BB0_41 Depth=1
	s_clause 0x1
	global_load_dwordx4 v[41:44], v[39:40], off
	global_load_dwordx2 v[9:10], v[39:40], off offset:16
	s_load_dwordx16 s[4:19], s[52:53], 0x0
                                        ; implicit-def: $vgpr80 : SGPR spill to VGPR lane
	s_waitcnt lgkmcnt(0)
	v_writelane_b32 v81, s4, 14
	v_writelane_b32 v81, s5, 15
	v_writelane_b32 v81, s6, 16
	v_writelane_b32 v81, s7, 17
	v_writelane_b32 v81, s8, 18
	v_writelane_b32 v81, s9, 19
	v_writelane_b32 v81, s10, 20
	v_writelane_b32 v81, s11, 21
	v_writelane_b32 v81, s12, 22
	v_writelane_b32 v81, s13, 23
	v_writelane_b32 v81, s14, 24
	v_writelane_b32 v81, s15, 25
	v_writelane_b32 v81, s16, 26
	v_writelane_b32 v81, s17, 27
	v_writelane_b32 v81, s18, 28
	v_writelane_b32 v81, s19, 29
	v_readlane_b32 s2, v81, 0
	v_readlane_b32 s3, v81, 1
	s_load_dwordx4 s[20:23], s[2:3], 0x10
	s_load_dwordx2 s[2:3], s[52:53], 0x40
	s_waitcnt vmcnt(1)
	v_add_f64 v[47:48], v[16:17], -v[41:42]
	v_add_f64 v[49:50], v[18:19], -v[43:44]
	s_waitcnt vmcnt(0)
	v_add_f64 v[51:52], v[12:13], -v[9:10]
	v_fma_f64 v[9:10], s[4:5], v[47:48], 0
	v_fma_f64 v[41:42], s[10:11], v[47:48], 0
	;; [unrolled: 1-line block ×6, first 2 shown]
	s_waitcnt lgkmcnt(0)
	s_load_dwordx16 s[4:19], s[22:23], 0x0
	v_rndne_f64_e32 v[9:10], v[9:10]
	v_rndne_f64_e32 v[41:42], v[41:42]
	s_waitcnt lgkmcnt(0)
	v_fma_f64 v[43:44], v[9:10], s[10:11], 0
	v_fma_f64 v[45:46], v[9:10], s[4:5], 0
	;; [unrolled: 1-line block ×6, first 2 shown]
	v_writelane_b32 v81, s4, 30
	v_writelane_b32 v80, s6, 0
	;; [unrolled: 1-line block ×16, first 2 shown]
	v_readlane_b32 s4, v81, 14
	v_readlane_b32 s16, v81, 26
	;; [unrolled: 1-line block ×7, first 2 shown]
	v_fma_f64 v[41:42], s[16:17], v[47:48], 0
	v_readlane_b32 s9, v81, 19
	v_readlane_b32 s10, v81, 20
	;; [unrolled: 1-line block ×21, first 2 shown]
	v_fma_f64 v[41:42], s[18:19], v[49:50], v[41:42]
	v_readlane_b32 s14, v81, 24
	v_readlane_b32 s15, v81, 25
	;; [unrolled: 1-line block ×11, first 2 shown]
	s_mov_b64 s[10:11], s[14:15]
	v_readlane_b32 s5, v81, 31
	v_readlane_b32 s6, v80, 0
	;; [unrolled: 1-line block ×3, first 2 shown]
	s_mov_b64 s[4:5], s[8:9]
	v_readlane_b32 s12, v80, 6
	v_readlane_b32 s13, v80, 7
	;; [unrolled: 1-line block ×5, first 2 shown]
	v_fma_f64 v[41:42], s[2:3], v[51:52], v[41:42]
	s_load_dwordx2 s[2:3], s[22:23], 0x40
	v_readlane_b32 s19, v80, 13
	v_rndne_f64_e32 v[41:42], v[41:42]
	v_fma_f64 v[43:44], v[41:42], s[10:11], v[43:44]
	v_fma_f64 v[45:46], v[41:42], s[4:5], v[45:46]
	s_waitcnt lgkmcnt(0)
	v_fma_f64 v[9:10], v[41:42], s[2:3], v[9:10]
	s_mov_b32 s2, exec_lo
	v_add_f64 v[43:44], v[49:50], -v[43:44]
	v_add_f64 v[41:42], v[47:48], -v[45:46]
	;; [unrolled: 1-line block ×3, first 2 shown]
	v_mul_f64 v[9:10], v[43:44], v[43:44]
	v_fma_f64 v[9:10], v[41:42], v[41:42], v[9:10]
	v_fma_f64 v[9:10], v[45:46], v[45:46], v[9:10]
	v_cmpx_nle_f64_e32 0, v[9:10]
	s_cbranch_execz .LBB0_51
; %bb.50:                               ;   in Loop: Header=BB0_41 Depth=1
	v_mul_f64 v[9:10], v[49:50], v[49:50]
	v_mov_b32_e32 v41, v47
	v_mov_b32_e32 v43, v49
	;; [unrolled: 1-line block ×6, first 2 shown]
	v_fma_f64 v[9:10], v[47:48], v[47:48], v[9:10]
	v_fma_f64 v[9:10], v[51:52], v[51:52], v[9:10]
.LBB0_51:                               ;   in Loop: Header=BB0_41 Depth=1
	s_or_b32 exec_lo, exec_lo, s2
	v_cmp_gt_f64_e32 vcc_lo, 0x10000000, v[9:10]
	v_readlane_b32 s2, v81, 0
	v_readlane_b32 s3, v81, 1
	s_load_dwordx4 s[4:7], s[2:3], 0x10
	s_mov_b32 s3, exec_lo
	v_cndmask_b32_e64 v11, 0, 0x100, vcc_lo
	v_ldexp_f64 v[47:48], v[9:10], v11
	v_cndmask_b32_e64 v11, 0, 0xffffff80, vcc_lo
	v_rsq_f64_e32 v[49:50], v[47:48]
	v_cmp_class_f64_e64 vcc_lo, v[47:48], 0x260
	v_mul_f64 v[51:52], v[47:48], v[49:50]
	v_mul_f64 v[49:50], v[49:50], 0.5
	v_fma_f64 v[53:54], -v[49:50], v[51:52], 0.5
	v_fma_f64 v[51:52], v[51:52], v[53:54], v[51:52]
	v_fma_f64 v[49:50], v[49:50], v[53:54], v[49:50]
	v_fma_f64 v[53:54], -v[51:52], v[51:52], v[47:48]
	v_fma_f64 v[51:52], v[53:54], v[49:50], v[51:52]
	v_fma_f64 v[53:54], -v[51:52], v[51:52], v[47:48]
	v_fma_f64 v[49:50], v[53:54], v[49:50], v[51:52]
	v_ldexp_f64 v[49:50], v[49:50], v11
	v_cndmask_b32_e32 v48, v50, v48, vcc_lo
	v_cndmask_b32_e32 v47, v49, v47, vcc_lo
	s_waitcnt lgkmcnt(0)
	v_cmpx_ge_f64_e32 s[4:5], v[47:48]
	s_cbranch_execz .LBB0_61
; %bb.52:                               ;   in Loop: Header=BB0_41 Depth=1
	global_load_dword v11, v[39:40], off offset:72
	s_mov_b32 s4, exec_lo
	s_waitcnt vmcnt(0)
	v_cmpx_lt_i32_e64 v34, v11
	s_cbranch_execz .LBB0_60
; %bb.53:                               ;   in Loop: Header=BB0_41 Depth=1
	v_div_scale_f64 v[49:50], null, v[47:48], v[47:48], v[41:42]
	s_mov_b32 s6, 0x37cfa789
	s_mov_b32 s8, 0x54df3c0e
	;; [unrolled: 1-line block ×4, first 2 shown]
	v_mul_f64 v[7:8], v[7:8], v[22:23]
	v_rcp_f64_e32 v[51:52], v[49:50]
	v_fma_f64 v[53:54], -v[49:50], v[51:52], 1.0
	v_fma_f64 v[51:52], v[51:52], v[53:54], v[51:52]
	v_fma_f64 v[53:54], -v[49:50], v[51:52], 1.0
	v_fma_f64 v[51:52], v[51:52], v[53:54], v[51:52]
	v_div_scale_f64 v[53:54], vcc_lo, v[41:42], v[47:48], v[41:42]
	v_mul_f64 v[55:56], v[53:54], v[51:52]
	v_fma_f64 v[49:50], -v[49:50], v[55:56], v[53:54]
	v_div_fmas_f64 v[51:52], v[49:50], v[51:52], v[55:56]
	v_mul_f64 v[49:50], s[28:29], v[47:48]
	v_add_f64 v[53:54], |v[49:50]|, 4.0
	v_rcp_f64_e32 v[55:56], v[53:54]
	v_fma_f64 v[57:58], -v[53:54], v[55:56], 1.0
	v_fma_f64 v[55:56], v[57:58], v[55:56], v[55:56]
	v_fma_f64 v[53:54], -v[53:54], v[55:56], 1.0
	v_fma_f64 v[53:54], v[53:54], v[55:56], v[55:56]
	v_add_f64 v[55:56], |v[49:50]|, -4.0
	v_mul_f64 v[55:56], v[55:56], v[53:54]
	v_add_f64 v[57:58], v[55:56], 1.0
	v_fma_f64 v[57:58], v[57:58], -4.0, |v[49:50]|
	v_fma_f64 v[57:58], -v[55:56], |v[49:50]|, v[57:58]
	v_fma_f64 v[53:54], v[53:54], v[57:58], v[55:56]
	v_add_f64 v[55:56], |v[49:50]|, |v[49:50]|
	v_add_f64 v[57:58], v[55:56], 1.0
	v_rcp_f64_e32 v[59:60], v[57:58]
	v_fma_f64 v[61:62], -v[57:58], v[59:60], 1.0
	v_fma_f64 v[59:60], v[61:62], v[59:60], v[59:60]
	v_fma_f64 v[57:58], -v[57:58], v[59:60], 1.0
	v_fma_f64 v[57:58], v[57:58], v[59:60], v[59:60]
	v_fma_f64 v[59:60], v[53:54], s[8:9], s[6:7]
	s_mov_b32 s6, 0xd9802b82
	s_mov_b32 s7, 0x3e7b45f1
	v_fma_f64 v[59:60], v[53:54], v[59:60], s[6:7]
	s_mov_b32 s6, 0x8a03dcdb
	s_mov_b32 s7, 0x3e6d9048
	;; [unrolled: 3-line block ×21, first 2 shown]
	v_fma_f64 v[59:60], v[53:54], v[57:58], v[57:58]
	v_fma_f64 v[55:56], -v[59:60], v[55:56], 1.0
	v_add_f64 v[53:54], v[53:54], -v[59:60]
	v_add_f64 v[53:54], v[55:56], v[53:54]
	v_mul_f64 v[55:56], v[49:50], -v[49:50]
	v_fma_f64 v[53:54], v[57:58], v[53:54], v[59:60]
	v_mul_f64 v[57:58], v[55:56], s[56:57]
	v_cmp_nlt_f64_e32 vcc_lo, 0x40900000, v[55:56]
	v_cmp_ngt_f64_e64 s2, 0xc090cc00, v[55:56]
	v_rndne_f64_e32 v[57:58], v[57:58]
	v_fma_f64 v[59:60], v[57:58], s[58:59], v[55:56]
	v_cvt_i32_f64_e32 v11, v[57:58]
	v_fma_f64 v[55:56], -v[49:50], v[49:50], -v[55:56]
	v_fma_f64 v[59:60], v[57:58], s[60:61], v[59:60]
	v_fma_f64 v[61:62], v[59:60], s[64:65], s[62:63]
	v_fma_f64 v[61:62], v[59:60], v[61:62], s[66:67]
	v_fma_f64 v[61:62], v[59:60], v[61:62], s[68:69]
	v_fma_f64 v[61:62], v[59:60], v[61:62], s[70:71]
	v_fma_f64 v[61:62], v[59:60], v[61:62], s[72:73]
	v_fma_f64 v[61:62], v[59:60], v[61:62], s[74:75]
	v_fma_f64 v[61:62], v[59:60], v[61:62], s[76:77]
	v_fma_f64 v[61:62], v[59:60], v[61:62], s[78:79]
	v_fma_f64 v[61:62], v[59:60], v[61:62], s[80:81]
	v_fma_f64 v[61:62], v[59:60], v[61:62], 1.0
	v_fma_f64 v[59:60], v[59:60], v[61:62], 1.0
	v_ldexp_f64 v[57:58], v[59:60], v11
	v_cndmask_b32_e32 v11, 0x7ff00000, v58, vcc_lo
	s_and_b32 vcc_lo, s2, vcc_lo
	v_cndmask_b32_e32 v57, 0, v57, vcc_lo
	v_cmp_ngt_f64_e64 vcc_lo, |v[49:50]|, s[6:7]
	v_cndmask_b32_e64 v58, 0, v11, s2
	s_mov_b32 s6, 0x91b4ef6a
	s_mov_b32 s7, 0x3ffc5bf8
	v_fma_f64 v[55:56], v[57:58], v[55:56], v[57:58]
	v_mul_f64 v[53:54], v[55:56], v[53:54]
	v_cndmask_b32_e32 v54, 0, v54, vcc_lo
	v_cndmask_b32_e32 v53, 0, v53, vcc_lo
	v_cmp_gt_f64_e32 vcc_lo, 0, v[49:50]
	v_add_f64 v[55:56], -v[53:54], 2.0
	v_cndmask_b32_e32 v50, v54, v56, vcc_lo
	v_cndmask_b32_e32 v49, v53, v55, vcc_lo
	v_mul_f64 v[53:54], v[14:15], v[9:10]
	v_mul_f64 v[55:56], v[53:54], s[56:57]
	v_cmp_nlt_f64_e32 vcc_lo, 0x40900000, v[53:54]
	v_cmp_ngt_f64_e64 s2, 0xc090cc00, v[53:54]
	v_rndne_f64_e32 v[55:56], v[55:56]
	v_fma_f64 v[57:58], v[55:56], s[58:59], v[53:54]
	v_cvt_i32_f64_e32 v11, v[55:56]
	v_fma_f64 v[57:58], v[55:56], s[60:61], v[57:58]
	v_fma_f64 v[59:60], v[57:58], s[64:65], s[62:63]
	;; [unrolled: 1-line block ×10, first 2 shown]
	v_fma_f64 v[59:60], v[57:58], v[59:60], 1.0
	v_fma_f64 v[57:58], v[57:58], v[59:60], 1.0
	v_ldexp_f64 v[55:56], v[57:58], v11
	v_cndmask_b32_e32 v11, 0x7ff00000, v56, vcc_lo
	s_and_b32 vcc_lo, s2, vcc_lo
	v_cndmask_b32_e32 v53, 0, v55, vcc_lo
	v_mul_f64 v[55:56], v[7:8], -2.0
	v_cndmask_b32_e64 v54, 0, v11, s2
	v_mul_f64 v[7:8], v[49:50], v[7:8]
	s_mov_b32 s2, 0
	v_mul_f64 v[55:56], s[28:29], v[55:56]
	v_div_scale_f64 v[49:50], null, v[9:10], v[9:10], v[7:8]
	v_mul_f64 v[53:54], v[53:54], v[55:56]
	v_mul_f64 v[55:56], v[47:48], s[6:7]
	v_div_scale_f64 v[57:58], null, v[55:56], v[55:56], v[53:54]
	v_rcp_f64_e32 v[59:60], v[57:58]
	v_fma_f64 v[61:62], -v[57:58], v[59:60], 1.0
	v_fma_f64 v[59:60], v[59:60], v[61:62], v[59:60]
	v_fma_f64 v[61:62], -v[57:58], v[59:60], 1.0
	v_fma_f64 v[59:60], v[59:60], v[61:62], v[59:60]
	v_div_scale_f64 v[61:62], vcc_lo, v[53:54], v[55:56], v[53:54]
	v_mul_f64 v[63:64], v[61:62], v[59:60]
	v_fma_f64 v[57:58], -v[57:58], v[63:64], v[61:62]
	v_div_fmas_f64 v[57:58], v[57:58], v[59:60], v[63:64]
	v_rcp_f64_e32 v[59:60], v[49:50]
	v_div_fixup_f64 v[53:54], v[57:58], v[55:56], v[53:54]
	v_fma_f64 v[61:62], -v[49:50], v[59:60], 1.0
	v_fma_f64 v[59:60], v[59:60], v[61:62], v[59:60]
	v_fma_f64 v[61:62], -v[49:50], v[59:60], 1.0
	v_fma_f64 v[59:60], v[59:60], v[61:62], v[59:60]
	v_div_scale_f64 v[61:62], vcc_lo, v[7:8], v[9:10], v[7:8]
	v_mul_f64 v[63:64], v[61:62], v[59:60]
	v_fma_f64 v[49:50], -v[49:50], v[63:64], v[61:62]
	v_div_fmas_f64 v[49:50], v[49:50], v[59:60], v[63:64]
	v_div_fixup_f64 v[7:8], v[49:50], v[9:10], v[7:8]
	global_load_dwordx2 v[9:10], v[39:40], off offset:48
	v_add_f64 v[49:50], v[53:54], -v[7:8]
	v_div_fixup_f64 v[7:8], v[51:52], v[47:48], v[41:42]
	v_mul_f64 v[51:52], v[7:8], -v[49:50]
.LBB0_54:                               ;   Parent Loop BB0_41 Depth=1
                                        ; =>  This Inner Loop Header: Depth=2
	s_waitcnt vmcnt(0)
	v_add_f64 v[7:8], v[9:10], -v[51:52]
	global_atomic_cmpswap_x2 v[7:8], v[39:40], v[7:10], off offset:48 glc
	s_waitcnt vmcnt(0)
	v_cmp_eq_u64_e32 vcc_lo, v[7:8], v[9:10]
	v_mov_b32_e32 v10, v8
	v_mov_b32_e32 v9, v7
	s_or_b32 s2, vcc_lo, s2
	s_andn2_b32 exec_lo, exec_lo, s2
	s_cbranch_execnz .LBB0_54
; %bb.55:                               ;   in Loop: Header=BB0_41 Depth=1
	s_or_b32 exec_lo, exec_lo, s2
	v_div_scale_f64 v[7:8], null, v[47:48], v[47:48], v[43:44]
	s_mov_b32 s2, 0
	v_rcp_f64_e32 v[9:10], v[7:8]
	v_fma_f64 v[53:54], -v[7:8], v[9:10], 1.0
	v_fma_f64 v[9:10], v[9:10], v[53:54], v[9:10]
	v_fma_f64 v[53:54], -v[7:8], v[9:10], 1.0
	v_fma_f64 v[9:10], v[9:10], v[53:54], v[9:10]
	v_div_scale_f64 v[53:54], vcc_lo, v[43:44], v[47:48], v[43:44]
	v_mul_f64 v[55:56], v[53:54], v[9:10]
	v_fma_f64 v[7:8], -v[7:8], v[55:56], v[53:54]
	v_div_fmas_f64 v[7:8], v[7:8], v[9:10], v[55:56]
	global_load_dwordx2 v[9:10], v[39:40], off offset:56
	v_div_fixup_f64 v[7:8], v[7:8], v[47:48], v[43:44]
	v_mul_f64 v[53:54], v[7:8], -v[49:50]
.LBB0_56:                               ;   Parent Loop BB0_41 Depth=1
                                        ; =>  This Inner Loop Header: Depth=2
	s_waitcnt vmcnt(0)
	v_add_f64 v[7:8], v[9:10], -v[53:54]
	global_atomic_cmpswap_x2 v[7:8], v[39:40], v[7:10], off offset:56 glc
	s_waitcnt vmcnt(0)
	v_cmp_eq_u64_e32 vcc_lo, v[7:8], v[9:10]
	v_mov_b32_e32 v10, v8
	v_mov_b32_e32 v9, v7
	s_or_b32 s2, vcc_lo, s2
	s_andn2_b32 exec_lo, exec_lo, s2
	s_cbranch_execnz .LBB0_56
; %bb.57:                               ;   in Loop: Header=BB0_41 Depth=1
	s_or_b32 exec_lo, exec_lo, s2
	v_div_scale_f64 v[7:8], null, v[47:48], v[47:48], v[45:46]
	v_add_f64 v[0:1], v[0:1], v[51:52]
	v_add_f64 v[2:3], v[2:3], v[53:54]
	s_mov_b32 s2, 0
	v_rcp_f64_e32 v[9:10], v[7:8]
	v_fma_f64 v[55:56], -v[7:8], v[9:10], 1.0
	v_fma_f64 v[9:10], v[9:10], v[55:56], v[9:10]
	v_fma_f64 v[55:56], -v[7:8], v[9:10], 1.0
	v_fma_f64 v[9:10], v[9:10], v[55:56], v[9:10]
	v_div_scale_f64 v[55:56], vcc_lo, v[45:46], v[47:48], v[45:46]
	v_mul_f64 v[57:58], v[55:56], v[9:10]
	v_fma_f64 v[7:8], -v[7:8], v[57:58], v[55:56]
	v_div_fmas_f64 v[7:8], v[7:8], v[9:10], v[57:58]
	global_load_dwordx2 v[9:10], v[39:40], off offset:64
	v_div_fixup_f64 v[7:8], v[7:8], v[47:48], v[45:46]
	v_fma_f64 v[4:5], v[7:8], -v[49:50], v[4:5]
	v_mul_f64 v[47:48], v[7:8], -v[49:50]
.LBB0_58:                               ;   Parent Loop BB0_41 Depth=1
                                        ; =>  This Inner Loop Header: Depth=2
	s_waitcnt vmcnt(0)
	v_add_f64 v[7:8], v[9:10], -v[47:48]
	global_atomic_cmpswap_x2 v[7:8], v[39:40], v[7:10], off offset:64 glc
	s_waitcnt vmcnt(0)
	v_cmp_eq_u64_e32 vcc_lo, v[7:8], v[9:10]
	v_mov_b32_e32 v10, v8
	v_mov_b32_e32 v9, v7
	s_or_b32 s2, vcc_lo, s2
	s_andn2_b32 exec_lo, exec_lo, s2
	s_cbranch_execnz .LBB0_58
; %bb.59:                               ;   in Loop: Header=BB0_41 Depth=1
	s_or_b32 exec_lo, exec_lo, s2
.LBB0_60:                               ;   in Loop: Header=BB0_41 Depth=1
	s_or_b32 exec_lo, exec_lo, s4
.LBB0_61:                               ;   in Loop: Header=BB0_41 Depth=1
	s_or_b32 exec_lo, exec_lo, s3
	v_readlane_b32 s2, v81, 8
	s_andn2_b32 vcc_lo, exec_lo, s2
	s_cbranch_vccnz .LBB0_39
; %bb.62:                               ;   in Loop: Header=BB0_41 Depth=1
	global_load_dword v7, v[39:40], off offset:72
	s_waitcnt vmcnt(0)
	v_cmp_lt_i32_e32 vcc_lo, v34, v7
	s_mov_b32 s2, exec_lo
	v_writelane_b32 v81, s2, 14
	s_and_b32 s2, s2, vcc_lo
	s_mov_b32 exec_lo, s2
	s_cbranch_execz .LBB0_38
; %bb.63:                               ;   in Loop: Header=BB0_41 Depth=1
	global_load_dwordx2 v[7:8], v[39:40], off offset:40
	v_readlane_b32 s2, v81, 11
	v_readlane_b32 s3, v81, 12
	s_mov_b32 s2, s94
	s_mov_b32 s54, 0
	;; [unrolled: 1-line block ×3, first 2 shown]
	v_writelane_b32 v81, s4, 11
	v_writelane_b32 v81, s5, 12
	s_waitcnt vmcnt(0)
	v_mul_f64 v[7:8], v[22:23], v[7:8]
	v_mul_f64 v[7:8], v[37:38], v[7:8]
	;; [unrolled: 1-line block ×3, first 2 shown]
	s_branch .LBB0_65
.LBB0_64:                               ;   in Loop: Header=BB0_65 Depth=2
	s_add_i32 s54, s54, 1
	s_cmp_lg_u32 s54, 3
	s_cbranch_scc0 .LBB0_37
.LBB0_65:                               ;   Parent Loop BB0_41 Depth=1
                                        ; =>  This Loop Header: Depth=2
                                        ;       Child Loop BB0_68 Depth 3
                                        ;         Child Loop BB0_70 Depth 4
                                        ;           Child Loop BB0_76 Depth 5
                                        ;       Child Loop BB0_82 Depth 3
	s_andn2_b32 vcc_lo, exec_lo, vcc_hi
	s_cbranch_vccnz .LBB0_64
; %bb.66:                               ;   in Loop: Header=BB0_65 Depth=2
	s_lshl_b64 s[2:3], s[54:55], 3
	s_mov_b32 s5, 0
	v_add_co_u32 v49, vcc_lo, v39, s2
	v_add_co_ci_u32_e64 v50, null, s3, v40, vcc_lo
	s_cmp_lg_u32 s5, 0
	s_cselect_b32 s7, s33, 0
	s_cmp_gt_i32 s7, s30
	s_cbranch_scc1 .LBB0_82
.LBB0_67:                               ;   in Loop: Header=BB0_65 Depth=2
	v_cvt_f64_i32_e32 v[51:52], s5
.LBB0_68:                               ;   Parent Loop BB0_41 Depth=1
                                        ;     Parent Loop BB0_65 Depth=2
                                        ; =>    This Loop Header: Depth=3
                                        ;         Child Loop BB0_70 Depth 4
                                        ;           Child Loop BB0_76 Depth 5
	s_or_b32 s2, s7, s5
	s_cmp_lg_u32 s2, 0
	s_cselect_b32 s39, s33, 1
	s_cmp_gt_i32 s39, s30
	s_cbranch_scc1 .LBB0_80
; %bb.69:                               ;   in Loop: Header=BB0_68 Depth=3
	v_cvt_f64_i32_e32 v[53:54], s7
	s_mul_i32 s4, s7, s7
	s_mul_i32 s2, s5, s5
	s_add_i32 s4, s4, s2
.LBB0_70:                               ;   Parent Loop BB0_41 Depth=1
                                        ;     Parent Loop BB0_65 Depth=2
                                        ;       Parent Loop BB0_68 Depth=3
                                        ; =>      This Loop Header: Depth=4
                                        ;           Child Loop BB0_76 Depth 5
	s_mul_i32 s2, s39, s39
	s_mul_i32 s3, s30, s30
	s_add_i32 s2, s4, s2
	s_cmp_gt_u32 s2, s3
	s_cbranch_scc1 .LBB0_78
; %bb.71:                               ;   in Loop: Header=BB0_70 Depth=4
	s_load_dwordx16 s[8:23], s[52:53], 0x0
	v_cvt_f64_i32_e32 v[61:62], s39
	s_load_dwordx2 s[2:3], s[52:53], 0x40
	s_waitcnt lgkmcnt(0)
	v_mul_f64 v[7:8], s[10:11], s[94:95]
	v_mul_f64 v[9:10], s[16:17], s[94:95]
	;; [unrolled: 1-line block ×4, first 2 shown]
	v_fma_f64 v[7:8], v[7:8], v[51:52], 0
	v_fma_f64 v[7:8], v[9:10], v[53:54], v[7:8]
	v_mul_f64 v[9:10], s[8:9], s[94:95]
	v_fma_f64 v[9:10], v[9:10], v[51:52], 0
	v_fma_f64 v[9:10], v[55:56], v[53:54], v[9:10]
	v_mul_f64 v[55:56], s[12:13], s[94:95]
	v_fma_f64 v[55:56], v[55:56], v[51:52], 0
	v_fma_f64 v[59:60], v[57:58], v[53:54], v[55:56]
	v_mul_f64 v[55:56], s[22:23], s[94:95]
	v_fma_f64 v[55:56], v[55:56], v[61:62], v[7:8]
	v_mul_f64 v[7:8], s[20:21], s[94:95]
	v_fma_f64 v[57:58], v[7:8], v[61:62], v[9:10]
	v_mul_f64 v[7:8], s[2:3], s[94:95]
	;; [unrolled: 2-line block ×3, first 2 shown]
                                        ; implicit-def: $vgpr59_vgpr60
                                        ; implicit-def: $vgpr61_vgpr62
	v_fma_f64 v[7:8], v[41:42], v[57:58], v[7:8]
	v_fma_f64 v[8:9], v[45:46], v[10:11], v[7:8]
                                        ; implicit-def: $vgpr7
	v_cmp_ngt_f64_e64 s2, 0x41d00000, |v[8:9]|
	s_and_saveexec_b32 s3, s2
	s_xor_b32 s2, exec_lo, s3
	s_cbranch_execz .LBB0_73
; %bb.72:                               ;   in Loop: Header=BB0_70 Depth=4
	v_ldexp_f64 v[59:60], |v[8:9]|, 0xffffff80
	v_cmp_le_f64_e64 vcc_lo, 0x7b000000, |v[8:9]|
	v_trig_preop_f64 v[61:62], |v[8:9]|, 0
	v_and_b32_e32 v7, 0x7fffffff, v9
	v_trig_preop_f64 v[65:66], |v[8:9]|, 1
	v_trig_preop_f64 v[69:70], |v[8:9]|, 2
	s_mov_b32 s36, s94
	s_mov_b32 s43, s41
	v_cndmask_b32_e32 v60, v7, v60, vcc_lo
	v_cndmask_b32_e32 v59, v8, v59, vcc_lo
	v_mul_f64 v[63:64], v[61:62], v[59:60]
	v_mul_f64 v[67:68], v[65:66], v[59:60]
	;; [unrolled: 1-line block ×3, first 2 shown]
	v_fma_f64 v[61:62], v[61:62], v[59:60], -v[63:64]
	v_fma_f64 v[65:66], v[65:66], v[59:60], -v[67:68]
	;; [unrolled: 1-line block ×3, first 2 shown]
	v_add_f64 v[69:70], v[67:68], v[61:62]
	v_add_f64 v[73:74], v[69:70], -v[67:68]
	v_add_f64 v[61:62], v[61:62], -v[73:74]
	v_add_f64 v[73:74], v[69:70], -v[73:74]
	v_add_f64 v[67:68], v[67:68], -v[73:74]
	v_add_f64 v[73:74], v[71:72], v[65:66]
	v_add_f64 v[61:62], v[61:62], v[67:68]
	v_add_f64 v[75:76], v[73:74], -v[71:72]
	v_add_f64 v[67:68], v[73:74], v[61:62]
	v_add_f64 v[65:66], v[65:66], -v[75:76]
	v_add_f64 v[75:76], v[73:74], -v[75:76]
	;; [unrolled: 1-line block ×3, first 2 shown]
	v_add_f64 v[65:66], v[65:66], v[71:72]
	v_add_f64 v[71:72], v[67:68], -v[73:74]
	v_add_f64 v[61:62], v[61:62], -v[71:72]
	;; [unrolled: 1-line block ×4, first 2 shown]
	v_add_f64 v[73:74], v[63:64], v[69:70]
	v_add_f64 v[61:62], v[61:62], v[71:72]
	v_add_f64 v[63:64], v[73:74], -v[63:64]
	v_ldexp_f64 v[73:74], v[73:74], -2
	v_add_f64 v[61:62], v[65:66], v[61:62]
	v_add_f64 v[63:64], v[69:70], -v[63:64]
	v_fract_f64_e32 v[75:76], v[73:74]
	v_cmp_neq_f64_e64 vcc_lo, 0x7ff00000, |v[73:74]|
	v_add_f64 v[59:60], v[59:60], v[61:62]
	v_add_f64 v[65:66], v[63:64], v[67:68]
	v_ldexp_f64 v[75:76], v[75:76], 2
	v_add_f64 v[63:64], v[65:66], -v[63:64]
	v_cndmask_b32_e32 v70, 0, v76, vcc_lo
	v_cndmask_b32_e32 v69, 0, v75, vcc_lo
	v_add_f64 v[61:62], v[65:66], v[69:70]
	v_add_f64 v[63:64], v[67:68], -v[63:64]
	v_cmp_gt_f64_e32 vcc_lo, 0, v[61:62]
	v_add_f64 v[59:60], v[63:64], v[59:60]
	v_cndmask_b32_e64 v7, 0, 0x40100000, vcc_lo
	v_add_f64 v[61:62], v[69:70], v[6:7]
	v_add_f64 v[67:68], v[65:66], v[61:62]
	v_cvt_i32_f64_e32 v35, v[67:68]
	v_cvt_f64_i32_e32 v[67:68], v35
	v_add_f64 v[61:62], v[61:62], -v[67:68]
	v_add_f64 v[63:64], v[65:66], v[61:62]
	v_add_f64 v[61:62], v[63:64], -v[61:62]
	v_cmp_le_f64_e32 vcc_lo, 0.5, v[63:64]
	v_add_f64 v[61:62], v[65:66], -v[61:62]
	v_cndmask_b32_e64 v7, 0, 0x3ff00000, vcc_lo
	v_add_f64 v[59:60], v[59:60], v[61:62]
	v_add_f64 v[61:62], v[63:64], -v[6:7]
	v_add_co_ci_u32_e64 v7, null, 0, v35, vcc_lo
	v_add_f64 v[63:64], v[61:62], v[59:60]
	v_add_f64 v[61:62], v[63:64], -v[61:62]
	v_add_f64 v[59:60], v[59:60], -v[61:62]
	v_mul_f64 v[61:62], v[63:64], s[36:37]
	v_fma_f64 v[65:66], v[63:64], s[36:37], -v[61:62]
	v_fma_f64 v[63:64], v[63:64], s[42:43], v[65:66]
	v_fma_f64 v[63:64], v[59:60], s[36:37], v[63:64]
	v_add_f64 v[59:60], v[61:62], v[63:64]
	v_add_f64 v[61:62], v[59:60], -v[61:62]
	v_add_f64 v[61:62], v[63:64], -v[61:62]
.LBB0_73:                               ;   in Loop: Header=BB0_70 Depth=4
	s_andn2_saveexec_b32 s2, s2
	s_cbranch_execz .LBB0_75
; %bb.74:                               ;   in Loop: Header=BB0_70 Depth=4
	v_mul_f64 v[59:60], |v[8:9]|, s[96:97]
	s_mov_b32 s44, s94
	s_mov_b32 s40, s98
	v_rndne_f64_e32 v[63:64], v[59:60]
	v_fma_f64 v[59:60], v[63:64], s[44:45], |v[8:9]|
	v_mul_f64 v[61:62], v[63:64], s[98:99]
	v_cvt_i32_f64_e32 v7, v[63:64]
	v_fma_f64 v[67:68], v[63:64], s[98:99], v[59:60]
	v_add_f64 v[65:66], v[59:60], v[61:62]
	v_add_f64 v[59:60], v[59:60], -v[65:66]
	v_add_f64 v[65:66], v[65:66], -v[67:68]
	v_add_f64 v[59:60], v[59:60], v[61:62]
	v_fma_f64 v[61:62], v[63:64], s[40:41], v[61:62]
	v_add_f64 v[59:60], v[65:66], v[59:60]
	v_add_f64 v[59:60], v[59:60], -v[61:62]
	v_fma_f64 v[61:62], v[63:64], s[82:83], v[59:60]
	v_add_f64 v[59:60], v[67:68], v[61:62]
	v_add_f64 v[65:66], v[59:60], -v[67:68]
	v_add_f64 v[61:62], v[61:62], -v[65:66]
.LBB0_75:                               ;   in Loop: Header=BB0_70 Depth=4
	s_or_b32 exec_lo, exec_lo, s2
	v_mul_f64 v[63:64], v[59:60], v[59:60]
	s_mov_b32 s49, s75
	v_mul_f64 v[71:72], v[61:62], 0.5
	s_mov_b32 s47, s77
	s_cmp_eq_u32 s54, 1
	s_cselect_b32 s2, -1, 0
	s_cmp_eq_u32 s54, 2
	v_cndmask_b32_e64 v35, v57, v55, s2
	s_cselect_b32 s3, -1, 0
	v_mul_f64 v[65:66], v[63:64], 0.5
	v_mul_f64 v[73:74], v[59:60], -v[63:64]
	v_add_f64 v[67:68], -v[65:66], 1.0
	v_add_f64 v[69:70], -v[67:68], 1.0
	v_add_f64 v[65:66], v[69:70], -v[65:66]
	v_fma_f64 v[69:70], v[63:64], s[24:25], s[0:1]
	v_fma_f64 v[65:66], v[59:60], -v[61:62], v[65:66]
	v_fma_f64 v[69:70], v[63:64], v[69:70], s[26:27]
	v_fma_f64 v[69:70], v[63:64], v[69:70], s[34:35]
	;; [unrolled: 1-line block ×4, first 2 shown]
	v_fma_f64 v[61:62], v[63:64], v[69:70], -v[61:62]
	v_fma_f64 v[69:70], v[63:64], s[86:87], s[84:85]
	v_fma_f64 v[69:70], v[63:64], v[69:70], s[88:89]
	;; [unrolled: 1-line block ×5, first 2 shown]
	v_mul_f64 v[63:64], v[63:64], v[63:64]
	s_mov_b32 s47, 0xbfc55555
	v_fma_f64 v[63:64], v[63:64], v[69:70], v[65:66]
	v_mul_f64 v[65:66], v[55:56], v[55:56]
	v_cndmask_b32_e64 v55, v58, v56, s2
	v_fma_f64 v[65:66], v[57:58], v[57:58], v[65:66]
	v_add_f64 v[57:58], v[67:68], v[63:64]
	v_fma_f64 v[65:66], v[10:11], v[10:11], v[65:66]
	v_cndmask_b32_e64 v11, v55, v11, s3
	v_fma_f64 v[55:56], v[73:74], s[46:47], v[61:62]
	v_cndmask_b32_e64 v10, v35, v10, s3
	v_and_b32_e32 v35, 1, v7
	v_lshlrev_b32_e32 v7, 30, v7
	v_mul_f64 v[10:11], v[47:48], v[10:11]
	v_xor_b32_e32 v7, v7, v9
	v_and_b32_e32 v7, 0x80000000, v7
	v_div_scale_f64 v[69:70], null, v[20:21], v[20:21], -v[65:66]
	v_add_f64 v[55:56], v[59:60], -v[55:56]
	v_rcp_f64_e32 v[71:72], v[69:70]
	v_fma_f64 v[75:76], -v[69:70], v[71:72], 1.0
	v_fma_f64 v[71:72], v[71:72], v[75:76], v[71:72]
	v_fma_f64 v[75:76], -v[69:70], v[71:72], 1.0
	v_fma_f64 v[71:72], v[71:72], v[75:76], v[71:72]
	v_div_scale_f64 v[75:76], vcc_lo, -v[65:66], v[20:21], -v[65:66]
	v_mul_f64 v[77:78], v[75:76], v[71:72]
	v_fma_f64 v[69:70], -v[69:70], v[77:78], v[75:76]
	v_div_fmas_f64 v[69:70], v[69:70], v[71:72], v[77:78]
	v_cmp_eq_u32_e32 vcc_lo, 0, v35
	v_cndmask_b32_e32 v35, v57, v55, vcc_lo
	v_cndmask_b32_e32 v63, v58, v56, vcc_lo
	v_div_fixup_f64 v[55:56], v[69:70], v[20:21], -v[65:66]
	v_mul_f64 v[57:58], v[55:56], s[56:57]
	v_cmp_nlt_f64_e32 vcc_lo, 0x40900000, v[55:56]
	v_cmp_ngt_f64_e64 s6, 0xc090cc00, v[55:56]
	v_rndne_f64_e32 v[57:58], v[57:58]
	v_fma_f64 v[59:60], v[57:58], s[58:59], v[55:56]
	v_fma_f64 v[59:60], v[57:58], s[60:61], v[59:60]
	v_cvt_i32_f64_e32 v57, v[57:58]
	v_fma_f64 v[61:62], v[59:60], s[64:65], s[62:63]
	v_fma_f64 v[61:62], v[59:60], v[61:62], s[66:67]
	;; [unrolled: 1-line block ×9, first 2 shown]
	v_fma_f64 v[61:62], v[59:60], v[61:62], 1.0
	v_fma_f64 v[59:60], v[59:60], v[61:62], 1.0
	v_ldexp_f64 v[57:58], v[59:60], v57
	v_cndmask_b32_e32 v58, 0x7ff00000, v58, vcc_lo
	s_and_b32 vcc_lo, s6, vcc_lo
	s_cmp_eq_u32 s54, 0
	v_cndmask_b32_e32 v55, 0, v57, vcc_lo
	v_cmp_class_f64_e64 vcc_lo, v[8:9], 0x1f8
	v_cndmask_b32_e64 v56, 0, v58, s6
	v_xor_b32_e32 v8, v63, v7
	v_mul_f64 v[10:11], v[10:11], v[55:56]
	v_cndmask_b32_e32 v7, 0, v35, vcc_lo
	v_cndmask_b32_e32 v8, 0x7ff80000, v8, vcc_lo
	v_mul_f64 v[7:8], v[10:11], v[7:8]
	v_cndmask_b32_e64 v11, v0, v2, s2
	v_div_scale_f64 v[9:10], null, v[65:66], v[65:66], v[7:8]
	v_rcp_f64_e32 v[55:56], v[9:10]
	v_fma_f64 v[57:58], -v[9:10], v[55:56], 1.0
	v_fma_f64 v[55:56], v[55:56], v[57:58], v[55:56]
	v_fma_f64 v[57:58], -v[9:10], v[55:56], 1.0
	v_fma_f64 v[55:56], v[55:56], v[57:58], v[55:56]
	v_div_scale_f64 v[57:58], vcc_lo, v[7:8], v[65:66], v[7:8]
	v_mul_f64 v[59:60], v[57:58], v[55:56]
	v_fma_f64 v[9:10], -v[9:10], v[59:60], v[57:58]
	v_div_fmas_f64 v[9:10], v[9:10], v[55:56], v[59:60]
	s_cselect_b32 vcc_lo, -1, 0
	v_div_fixup_f64 v[7:8], v[9:10], v[65:66], v[7:8]
	v_cndmask_b32_e64 v9, v1, v3, s2
	v_cndmask_b32_e64 v10, v9, v5, s3
	;; [unrolled: 1-line block ×3, first 2 shown]
	v_fma_f64 v[9:10], v[7:8], 2.0, v[9:10]
	v_add_f64 v[55:56], v[7:8], v[7:8]
	v_cndmask_b32_e64 v5, v5, v10, s3
	v_cndmask_b32_e64 v4, v4, v9, s3
	;; [unrolled: 1-line block ×4, first 2 shown]
	v_cndmask_b32_e32 v1, v1, v10, vcc_lo
	v_cndmask_b32_e32 v0, v0, v9, vcc_lo
	global_load_dwordx2 v[9:10], v[49:50], off offset:48
	s_mov_b32 s2, 0
.LBB0_76:                               ;   Parent Loop BB0_41 Depth=1
                                        ;     Parent Loop BB0_65 Depth=2
                                        ;       Parent Loop BB0_68 Depth=3
                                        ;         Parent Loop BB0_70 Depth=4
                                        ; =>        This Inner Loop Header: Depth=5
	s_waitcnt vmcnt(0)
	v_add_f64 v[7:8], v[9:10], -v[55:56]
	global_atomic_cmpswap_x2 v[7:8], v[49:50], v[7:10], off offset:48 glc
	s_waitcnt vmcnt(0)
	v_cmp_eq_u64_e32 vcc_lo, v[7:8], v[9:10]
	v_mov_b32_e32 v10, v8
	v_mov_b32_e32 v9, v7
	s_or_b32 s2, vcc_lo, s2
	s_andn2_b32 exec_lo, exec_lo, s2
	s_cbranch_execnz .LBB0_76
; %bb.77:                               ;   in Loop: Header=BB0_70 Depth=4
	s_or_b32 exec_lo, exec_lo, s2
.LBB0_78:                               ;   in Loop: Header=BB0_70 Depth=4
	s_add_i32 s2, s39, 1
	s_cmp_lt_i32 s39, s30
	s_cbranch_scc0 .LBB0_80
; %bb.79:                               ;   in Loop: Header=BB0_70 Depth=4
	s_mov_b32 s39, s2
	s_branch .LBB0_70
.LBB0_80:                               ;   in Loop: Header=BB0_68 Depth=3
	s_add_i32 s2, s7, 1
	s_cmp_lt_i32 s7, s30
	s_cbranch_scc0 .LBB0_82
; %bb.81:                               ;   in Loop: Header=BB0_68 Depth=3
	s_mov_b32 s7, s2
	s_branch .LBB0_68
.LBB0_82:                               ;   Parent Loop BB0_41 Depth=1
                                        ;     Parent Loop BB0_65 Depth=2
                                        ; =>    This Inner Loop Header: Depth=3
	s_add_i32 s2, s5, 1
	s_cmp_lg_u32 s5, s30
	s_cbranch_scc0 .LBB0_64
; %bb.83:                               ;   in Loop: Header=BB0_82 Depth=3
	s_mov_b32 s5, s2
	s_cmp_lg_u32 s5, 0
	s_cselect_b32 s7, s33, 0
	s_cmp_gt_i32 s7, s30
	s_cbranch_scc0 .LBB0_67
	s_branch .LBB0_82
.LBB0_84:
	v_mov_b32_e32 v0, 0
	v_mov_b32_e32 v1, v0
	;; [unrolled: 1-line block ×6, first 2 shown]
.LBB0_85:
	global_load_dwordx2 v[8:9], v[32:33], off offset:48
	s_mov_b32 s0, 0
.LBB0_86:                               ; =>This Inner Loop Header: Depth=1
	s_waitcnt vmcnt(0)
	v_add_f64 v[6:7], v[8:9], v[0:1]
	global_atomic_cmpswap_x2 v[6:7], v[32:33], v[6:9], off offset:48 glc
	s_waitcnt vmcnt(0)
	v_cmp_eq_u64_e32 vcc_lo, v[6:7], v[8:9]
	v_mov_b32_e32 v9, v7
	v_mov_b32_e32 v8, v6
	s_or_b32 s0, vcc_lo, s0
	s_andn2_b32 exec_lo, exec_lo, s0
	s_cbranch_execnz .LBB0_86
; %bb.87:
	s_or_b32 exec_lo, exec_lo, s0
	global_load_dwordx2 v[8:9], v[32:33], off offset:56
	s_mov_b32 s0, 0
.LBB0_88:                               ; =>This Inner Loop Header: Depth=1
	s_waitcnt vmcnt(0)
	v_add_f64 v[6:7], v[8:9], v[2:3]
	global_atomic_cmpswap_x2 v[0:1], v[32:33], v[6:9], off offset:56 glc
	s_waitcnt vmcnt(0)
	v_cmp_eq_u64_e32 vcc_lo, v[0:1], v[8:9]
	v_mov_b32_e32 v9, v1
	v_mov_b32_e32 v8, v0
	s_or_b32 s0, vcc_lo, s0
	s_andn2_b32 exec_lo, exec_lo, s0
	s_cbranch_execnz .LBB0_88
; %bb.89:
	s_or_b32 exec_lo, exec_lo, s0
	global_load_dwordx2 v[2:3], v[32:33], off offset:64
	s_mov_b32 s0, 0
.LBB0_90:                               ; =>This Inner Loop Header: Depth=1
	s_waitcnt vmcnt(0)
	v_add_f64 v[0:1], v[2:3], v[4:5]
	global_atomic_cmpswap_x2 v[0:1], v[32:33], v[0:3], off offset:64 glc
	s_waitcnt vmcnt(0)
	v_cmp_eq_u64_e32 vcc_lo, v[0:1], v[2:3]
	v_mov_b32_e32 v3, v1
	v_mov_b32_e32 v2, v0
	s_or_b32 s0, vcc_lo, s0
	s_andn2_b32 exec_lo, exec_lo, s0
	s_cbranch_execnz .LBB0_90
; %bb.91:
	s_or_b32 exec_lo, exec_lo, s0
	s_cmp_lg_u32 s36, 2
	s_cbranch_scc1 .LBB0_121
.LBB0_92:
	v_add_nc_u32_e32 v61, 1, v36
	v_cmp_gt_i32_e32 vcc_lo, s104, v61
	s_and_b32 exec_lo, exec_lo, vcc_lo
	s_cbranch_execz .LBB0_121
; %bb.93:
	v_readlane_b32 s4, v81, 0
	v_readlane_b32 s5, v81, 1
	s_mov_b32 s22, 0x652b82fe
	s_mov_b32 s24, 0xfefa39ef
	;; [unrolled: 1-line block ×4, first 2 shown]
	s_clause 0x1
	s_load_dwordx4 s[0:3], s[4:5], 0x10
	s_load_dwordx2 s[20:21], s[4:5], 0x40
	s_mov_b32 s30, 0x6a5dcb37
	s_mov_b32 s34, 0x623fde64
	;; [unrolled: 1-line block ×9, first 2 shown]
	s_waitcnt lgkmcnt(0)
	s_mov_b32 s3, 0
	s_mov_b32 s23, 0x3ff71547
	;; [unrolled: 1-line block ×9, first 2 shown]
	v_mul_f64 v[0:1], s[0:1], s[0:1]
	s_waitcnt vmcnt(1)
	v_cmp_neq_f64_e64 s0, 0, v[26:27]
	v_cmp_neq_f64_e64 s1, 0, v[22:23]
	s_mov_b32 s41, 0x3f56c16c
	s_mov_b32 s43, 0x3f811111
	;; [unrolled: 1-line block ×5, first 2 shown]
	v_div_scale_f64 v[2:3], null, v[0:1], v[0:1], 1.0
	v_div_scale_f64 v[8:9], vcc_lo, 1.0, v[0:1], 1.0
	v_rcp_f64_e32 v[4:5], v[2:3]
	v_fma_f64 v[6:7], -v[2:3], v[4:5], 1.0
	v_fma_f64 v[4:5], v[4:5], v[6:7], v[4:5]
	v_fma_f64 v[6:7], -v[2:3], v[4:5], 1.0
	v_fma_f64 v[6:7], v[4:5], v[6:7], v[4:5]
	v_mul_f64 v[4:5], s[20:21], s[20:21]
	v_mul_f64 v[10:11], v[8:9], v[6:7]
	v_fma_f64 v[2:3], -v[2:3], v[10:11], v[8:9]
	v_mul_f64 v[8:9], s[20:21], 0.5
	v_div_fmas_f64 v[2:3], v[2:3], v[6:7], v[10:11]
	v_mul_f64 v[6:7], s[20:21], v[8:9]
	v_mul_f64 v[8:9], s[20:21], v[4:5]
	v_div_fixup_f64 v[10:11], v[2:3], v[0:1], 1.0
	s_branch .LBB0_95
.LBB0_94:                               ;   in Loop: Header=BB0_95 Depth=1
	s_or_b32 exec_lo, exec_lo, s33
	v_add_nc_u32_e32 v61, 1, v61
	v_cmp_le_i32_e32 vcc_lo, s104, v61
	s_or_b32 s3, vcc_lo, s3
	s_andn2_b32 exec_lo, exec_lo, s3
	s_cbranch_execz .LBB0_121
.LBB0_95:                               ; =>This Loop Header: Depth=1
                                        ;     Child Loop BB0_110 Depth 2
                                        ;     Child Loop BB0_112 Depth 2
                                        ;     Child Loop BB0_114 Depth 2
                                        ;     Child Loop BB0_116 Depth 2
                                        ;     Child Loop BB0_118 Depth 2
                                        ;     Child Loop BB0_120 Depth 2
	v_readlane_b32 s4, v81, 6
	v_readlane_b32 s5, v81, 7
	s_mov_b32 s33, exec_lo
	v_mad_i64_i32 v[14:15], null, 0x70, v61, s[4:5]
	global_load_dword v0, v[14:15], off offset:72
	s_waitcnt vmcnt(0)
	v_cmpx_ne_u32_e64 v34, v0
	s_cbranch_execz .LBB0_94
; %bb.96:                               ;   in Loop: Header=BB0_95 Depth=1
	s_clause 0x1
	global_load_dwordx4 v[0:3], v[14:15], off
	global_load_dwordx2 v[20:21], v[14:15], off offset:16
	s_load_dwordx16 s[4:19], s[52:53], 0x0
	v_readlane_b32 s56, v81, 2
	v_readlane_b32 s58, v81, 4
	;; [unrolled: 1-line block ×3, first 2 shown]
	s_load_dwordx2 s[50:51], s[52:53], 0x40
	s_mov_b32 s2, exec_lo
	v_readlane_b32 s57, v81, 3
	s_waitcnt vmcnt(1)
	v_add_f64 v[0:1], v[16:17], -v[0:1]
	v_add_f64 v[2:3], v[18:19], -v[2:3]
	s_waitcnt vmcnt(0)
	v_add_f64 v[37:38], v[12:13], -v[20:21]
	s_waitcnt lgkmcnt(0)
	v_fma_f64 v[26:27], s[4:5], v[0:1], 0
	v_fma_f64 v[35:36], s[10:11], v[0:1], 0
	;; [unrolled: 1-line block ×8, first 2 shown]
	s_load_dwordx16 s[4:19], s[58:59], 0x0
	v_rndne_f64_e32 v[20:21], v[20:21]
	v_rndne_f64_e32 v[26:27], v[26:27]
	v_fma_f64 v[35:36], s[50:51], v[37:38], v[35:36]
	s_waitcnt lgkmcnt(0)
	v_fma_f64 v[39:40], v[20:21], s[10:11], 0
	v_fma_f64 v[41:42], v[20:21], s[4:5], 0
	v_rndne_f64_e32 v[35:36], v[35:36]
	v_fma_f64 v[20:21], v[20:21], s[16:17], 0
	s_load_dwordx2 s[4:5], s[58:59], 0x40
	v_fma_f64 v[39:40], v[26:27], s[12:13], v[39:40]
	v_fma_f64 v[41:42], v[26:27], s[6:7], v[41:42]
	;; [unrolled: 1-line block ×5, first 2 shown]
	s_waitcnt lgkmcnt(0)
	v_fma_f64 v[35:36], v[35:36], s[4:5], v[26:27]
	v_add_f64 v[20:21], v[2:3], -v[39:40]
	v_add_f64 v[26:27], v[0:1], -v[41:42]
	;; [unrolled: 1-line block ×3, first 2 shown]
	v_mul_f64 v[39:40], v[20:21], v[20:21]
	v_fma_f64 v[39:40], v[26:27], v[26:27], v[39:40]
	v_fma_f64 v[39:40], v[35:36], v[35:36], v[39:40]
	v_cmpx_nle_f64_e32 0, v[39:40]
	s_cbranch_execz .LBB0_98
; %bb.97:                               ;   in Loop: Header=BB0_95 Depth=1
	v_mul_f64 v[20:21], v[2:3], v[2:3]
	v_mov_b32_e32 v27, v1
	v_mov_b32_e32 v35, v37
	v_mov_b32_e32 v26, v0
	v_mov_b32_e32 v36, v38
	v_fma_f64 v[20:21], v[0:1], v[0:1], v[20:21]
	v_fma_f64 v[39:40], v[37:38], v[37:38], v[20:21]
	v_mov_b32_e32 v21, v3
	v_mov_b32_e32 v20, v2
.LBB0_98:                               ;   in Loop: Header=BB0_95 Depth=1
	s_or_b32 exec_lo, exec_lo, s2
	v_cmp_gt_f64_e32 vcc_lo, 0x10000000, v[39:40]
	v_readlane_b32 s4, v81, 2
	v_readlane_b32 s5, v81, 3
	;; [unrolled: 1-line block ×4, first 2 shown]
	v_cndmask_b32_e64 v0, 0, 0x100, vcc_lo
	v_ldexp_f64 v[0:1], v[39:40], v0
	v_rsq_f64_e32 v[2:3], v[0:1]
	v_mul_f64 v[37:38], v[0:1], v[2:3]
	v_mul_f64 v[2:3], v[2:3], 0.5
	v_fma_f64 v[39:40], -v[2:3], v[37:38], 0.5
	v_fma_f64 v[37:38], v[37:38], v[39:40], v[37:38]
	v_fma_f64 v[2:3], v[2:3], v[39:40], v[2:3]
	v_fma_f64 v[39:40], -v[37:38], v[37:38], v[0:1]
	v_fma_f64 v[37:38], v[39:40], v[2:3], v[37:38]
	v_fma_f64 v[39:40], -v[37:38], v[37:38], v[0:1]
	v_fma_f64 v[2:3], v[39:40], v[2:3], v[37:38]
	v_cndmask_b32_e64 v37, 0, 0xffffff80, vcc_lo
	v_cmp_class_f64_e64 vcc_lo, v[0:1], 0x260
	v_ldexp_f64 v[2:3], v[2:3], v37
	v_cndmask_b32_e32 v44, v3, v1, vcc_lo
	v_cndmask_b32_e32 v43, v2, v0, vcc_lo
	v_cmp_nlt_f64_e32 vcc_lo, s[4:5], v[43:44]
	s_and_b32 exec_lo, exec_lo, vcc_lo
	s_cbranch_execz .LBB0_94
; %bb.99:                               ;   in Loop: Header=BB0_95 Depth=1
	s_clause 0x2
	global_load_dwordx2 v[59:60], v[14:15], off offset:40
	global_load_dwordx4 v[0:3], v[14:15], off offset:80
	global_load_dwordx2 v[41:42], v[14:15], off offset:96
	v_div_scale_f64 v[37:38], null, v[43:44], v[43:44], 1.0
	v_mul_f64 v[53:54], v[20:21], v[20:21]
	v_mul_f64 v[55:56], v[26:27], v[26:27]
	;; [unrolled: 1-line block ×3, first 2 shown]
	v_rcp_f64_e32 v[39:40], v[37:38]
	v_fma_f64 v[45:46], -v[37:38], v[39:40], 1.0
	v_fma_f64 v[39:40], v[39:40], v[45:46], v[39:40]
	v_fma_f64 v[45:46], -v[37:38], v[39:40], 1.0
	v_fma_f64 v[39:40], v[39:40], v[45:46], v[39:40]
	v_div_scale_f64 v[45:46], vcc_lo, 1.0, v[43:44], 1.0
	v_mul_f64 v[47:48], v[45:46], v[39:40]
	v_fma_f64 v[37:38], -v[37:38], v[47:48], v[45:46]
	v_mov_b32_e32 v45, 0
	v_mov_b32_e32 v46, 0
	v_div_fmas_f64 v[37:38], v[37:38], v[39:40], v[47:48]
	v_mov_b32_e32 v39, 0
	v_mov_b32_e32 v40, 0
	v_div_fixup_f64 v[49:50], v[37:38], v[43:44], 1.0
	v_mov_b32_e32 v37, 0
	v_mov_b32_e32 v38, 0
	v_mul_f64 v[51:52], v[49:50], v[49:50]
	v_mul_f64 v[47:48], v[49:50], v[51:52]
	s_waitcnt vmcnt(2)
	v_cmp_neq_f64_e32 vcc_lo, 0, v[59:60]
	s_and_b32 s4, vcc_lo, s0
	s_and_saveexec_b32 s2, s4
	s_cbranch_execnz .LBB0_102
; %bb.100:                              ;   in Loop: Header=BB0_95 Depth=1
	s_or_b32 exec_lo, exec_lo, s2
	s_and_saveexec_b32 s2, s1
	s_cbranch_execnz .LBB0_103
.LBB0_101:                              ;   in Loop: Header=BB0_95 Depth=1
	s_or_b32 exec_lo, exec_lo, s2
	s_and_saveexec_b32 s4, s0
	s_cbranch_execnz .LBB0_106
	s_branch .LBB0_109
.LBB0_102:                              ;   in Loop: Header=BB0_95 Depth=1
	v_mul_f64 v[37:38], 0xc0080000, v[20:21]
	v_fma_f64 v[39:40], v[55:56], -2.0, v[53:54]
	v_add_f64 v[45:46], v[53:54], v[57:58]
	v_mul_f64 v[62:63], 0xc0080000, v[26:27]
	v_fma_f64 v[64:65], v[53:54], -2.0, v[55:56]
	v_add_f64 v[66:67], v[55:56], v[57:58]
	v_mul_f64 v[68:69], v[10:11], v[20:21]
	v_mul_f64 v[72:73], v[10:11], v[26:27]
	v_fma_f64 v[74:75], v[57:58], -2.0, v[55:56]
	v_mul_f64 v[59:60], v[47:48], v[59:60]
	v_mul_f64 v[37:38], v[35:36], v[37:38]
	v_add_f64 v[39:40], v[57:58], v[39:40]
	v_mul_f64 v[45:46], v[10:11], v[45:46]
	v_mul_f64 v[70:71], v[20:21], v[62:63]
	;; [unrolled: 1-line block ×3, first 2 shown]
	v_add_f64 v[64:65], v[57:58], v[64:65]
	v_mul_f64 v[66:67], v[10:11], v[66:67]
	v_mul_f64 v[37:38], v[51:52], v[37:38]
	v_fma_f64 v[39:40], v[51:52], v[39:40], -v[45:46]
	v_mul_f64 v[45:46], v[51:52], v[70:71]
	v_mul_f64 v[62:63], v[51:52], v[62:63]
	v_fma_f64 v[64:65], v[51:52], v[64:65], -v[66:67]
	v_add_f64 v[66:67], v[55:56], v[53:54]
	v_fma_f64 v[37:38], v[35:36], v[68:69], v[37:38]
	v_add_f64 v[68:69], v[53:54], v[74:75]
	v_mul_f64 v[39:40], v[28:29], v[39:40]
	v_fma_f64 v[45:46], v[20:21], v[72:73], v[45:46]
	v_fma_f64 v[62:63], v[35:36], v[72:73], v[62:63]
	v_mul_f64 v[64:65], v[30:31], v[64:65]
	v_mul_f64 v[66:67], v[10:11], v[66:67]
	v_mul_f64 v[70:71], v[30:31], v[37:38]
	v_fma_f64 v[39:40], v[30:31], v[45:46], v[39:40]
	v_fma_f64 v[45:46], v[28:29], v[45:46], v[64:65]
	v_fma_f64 v[66:67], v[51:52], v[68:69], -v[66:67]
	v_fma_f64 v[64:65], v[28:29], v[62:63], v[70:71]
	v_fma_f64 v[39:40], v[24:25], v[62:63], v[39:40]
	;; [unrolled: 1-line block ×7, first 2 shown]
	s_or_b32 exec_lo, exec_lo, s2
	s_and_saveexec_b32 s2, s1
	s_cbranch_execz .LBB0_101
.LBB0_103:                              ;   in Loop: Header=BB0_95 Depth=1
	global_load_dwordx2 v[59:60], v[14:15], off offset:104
	s_mov_b32 s4, exec_lo
	s_waitcnt vmcnt(0)
	v_cmpx_neq_f64_e32 0, v[59:60]
	s_cbranch_execz .LBB0_105
; %bb.104:                              ;   in Loop: Header=BB0_95 Depth=1
	v_mul_f64 v[59:60], 0xc0080000, v[26:27]
	v_mul_f64 v[62:63], 0xc0080000, v[20:21]
	v_fma_f64 v[64:65], v[53:54], -2.0, v[55:56]
	v_add_f64 v[66:67], v[55:56], v[57:58]
	v_fma_f64 v[70:71], v[55:56], -2.0, v[53:54]
	v_add_f64 v[72:73], v[53:54], v[57:58]
	v_mul_f64 v[74:75], v[10:11], v[26:27]
	v_mul_f64 v[76:77], v[10:11], v[20:21]
	v_fma_f64 v[78:79], v[57:58], -2.0, v[55:56]
	v_add_f64 v[55:56], v[55:56], v[53:54]
	v_mul_f64 v[68:69], v[20:21], v[59:60]
	v_mul_f64 v[62:63], v[35:36], v[62:63]
	;; [unrolled: 1-line block ×3, first 2 shown]
	v_add_f64 v[64:65], v[57:58], v[64:65]
	v_mul_f64 v[66:67], v[10:11], v[66:67]
	v_add_f64 v[57:58], v[57:58], v[70:71]
	v_mul_f64 v[70:71], v[10:11], v[72:73]
	;; [unrolled: 2-line block ×3, first 2 shown]
	v_mul_f64 v[68:69], v[51:52], v[68:69]
	v_mul_f64 v[62:63], v[51:52], v[62:63]
	;; [unrolled: 1-line block ×3, first 2 shown]
	v_fma_f64 v[64:65], v[51:52], v[64:65], -v[66:67]
	v_fma_f64 v[57:58], v[51:52], v[57:58], -v[70:71]
	;; [unrolled: 1-line block ×3, first 2 shown]
	v_fma_f64 v[66:67], v[20:21], v[74:75], v[68:69]
	v_fma_f64 v[62:63], v[35:36], v[76:77], v[62:63]
	;; [unrolled: 1-line block ×3, first 2 shown]
	v_mul_f64 v[64:65], v[64:65], v[2:3]
	v_mul_f64 v[68:69], v[66:67], v[2:3]
	;; [unrolled: 1-line block ×3, first 2 shown]
	v_fma_f64 v[55:56], v[66:67], v[0:1], v[64:65]
	v_mul_f64 v[66:67], v[47:48], v[22:23]
	v_fma_f64 v[57:58], v[57:58], v[0:1], v[68:69]
	v_fma_f64 v[64:65], v[59:60], v[0:1], v[70:71]
	;; [unrolled: 1-line block ×5, first 2 shown]
	v_fma_f64 v[39:40], -v[66:67], v[55:56], v[39:40]
	v_fma_f64 v[45:46], -v[66:67], v[57:58], v[45:46]
	;; [unrolled: 1-line block ×3, first 2 shown]
.LBB0_105:                              ;   in Loop: Header=BB0_95 Depth=1
	s_or_b32 exec_lo, exec_lo, s4
	s_or_b32 exec_lo, exec_lo, s2
	s_and_saveexec_b32 s4, s0
	s_cbranch_execz .LBB0_109
.LBB0_106:                              ;   in Loop: Header=BB0_95 Depth=1
	global_load_dwordx2 v[53:54], v[14:15], off offset:104
	s_mov_b32 s5, exec_lo
	s_waitcnt vmcnt(0)
	v_cmpx_neq_f64_e32 0, v[53:54]
	s_cbranch_execz .LBB0_108
; %bb.107:                              ;   in Loop: Header=BB0_95 Depth=1
	v_mul_f64 v[53:54], v[43:44], -s[20:21]
	v_mul_f64 v[59:60], v[43:44], v[43:44]
	v_mul_f64 v[74:75], v[51:52], v[47:48]
	;; [unrolled: 1-line block ×6, first 2 shown]
	v_cmp_ngt_f64_e64 s2, 0xc090cc00, v[53:54]
	v_rndne_f64_e32 v[55:56], v[55:56]
	v_mul_f64 v[64:65], v[8:9], v[64:65]
	v_mul_f64 v[51:52], 0xc02e0000, v[51:52]
	v_fma_f64 v[57:58], v[55:56], s[24:25], v[53:54]
	v_div_scale_f64 v[66:67], null, 0x40180000, 0x40180000, v[64:65]
	v_div_scale_f64 v[72:73], vcc_lo, v[64:65], 0x40180000, v[64:65]
	v_cvt_i32_f64_e32 v78, v[55:56]
	v_fma_f64 v[57:58], v[55:56], s[26:27], v[57:58]
	v_rcp_f64_e32 v[68:69], v[66:67]
	v_fma_f64 v[62:63], v[57:58], s[30:31], s[28:29]
	v_fma_f64 v[70:71], -v[66:67], v[68:69], 1.0
	v_fma_f64 v[62:63], v[57:58], v[62:63], s[34:35]
	v_fma_f64 v[68:69], v[68:69], v[70:71], v[68:69]
	;; [unrolled: 1-line block ×3, first 2 shown]
	v_fma_f64 v[70:71], -v[66:67], v[68:69], 1.0
	v_fma_f64 v[62:63], v[57:58], v[62:63], s[38:39]
	v_fma_f64 v[68:69], v[68:69], v[70:71], v[68:69]
	;; [unrolled: 1-line block ×3, first 2 shown]
	v_mul_f64 v[70:71], v[72:73], v[68:69]
	v_fma_f64 v[62:63], v[57:58], v[62:63], s[42:43]
	v_fma_f64 v[66:67], -v[66:67], v[70:71], v[72:73]
	v_fma_f64 v[72:73], v[28:29], v[26:27], v[76:77]
	v_fma_f64 v[76:77], s[20:21], v[49:50], v[4:5]
	;; [unrolled: 1-line block ×3, first 2 shown]
	v_div_fmas_f64 v[66:67], v[66:67], v[68:69], v[70:71]
	v_mul_f64 v[68:69], v[30:31], v[2:3]
	v_cmp_nlt_f64_e32 vcc_lo, 0x40900000, v[53:54]
	v_fma_f64 v[62:63], v[57:58], v[62:63], s[46:47]
	v_div_fixup_f64 v[64:65], v[66:67], 0x40180000, v[64:65]
	v_fma_f64 v[53:54], v[28:29], v[0:1], v[68:69]
	v_mul_f64 v[68:69], 0x40080000, v[74:75]
	v_fma_f64 v[62:63], v[57:58], v[62:63], s[48:49]
	v_fma_f64 v[53:54], v[24:25], v[41:42], v[53:54]
	v_fma_f64 v[62:63], v[57:58], v[62:63], 1.0
	v_mul_f64 v[47:48], v[47:48], -v[53:54]
	v_fma_f64 v[55:56], v[57:58], v[62:63], 1.0
	v_mul_f64 v[57:58], v[20:21], v[2:3]
	v_fma_f64 v[62:63], s[20:21], v[43:44], 1.0
	v_mul_f64 v[43:44], v[43:44], 0.5
	v_ldexp_f64 v[55:56], v[55:56], v78
	v_fma_f64 v[57:58], v[26:27], v[0:1], v[57:58]
	v_fma_f64 v[59:60], v[6:7], v[59:60], v[62:63]
	;; [unrolled: 1-line block ×3, first 2 shown]
	v_mul_f64 v[43:44], s[20:21], v[43:44]
	v_mul_f64 v[72:73], v[68:69], v[53:54]
	v_cndmask_b32_e32 v66, 0x7ff00000, v56, vcc_lo
	v_fma_f64 v[56:57], v[35:36], v[41:42], v[57:58]
	v_add_f64 v[64:65], v[59:60], v[64:65]
	v_mul_f64 v[51:52], v[62:63], v[51:52]
	s_and_b32 vcc_lo, s2, vcc_lo
	v_cndmask_b32_e64 v67, 0, v66, s2
	v_cndmask_b32_e32 v66, 0, v55, vcc_lo
	v_mul_f64 v[43:44], s[20:21], v[43:44]
	v_mul_f64 v[62:63], v[62:63], v[68:69]
	v_fma_f64 v[74:75], -v[59:60], v[66:67], 1.0
	v_mul_f64 v[49:50], v[49:50], v[66:67]
	v_mul_f64 v[78:79], v[68:69], v[56:57]
	v_fma_f64 v[70:71], -v[64:65], v[66:67], 1.0
	v_mul_f64 v[51:52], v[51:52], v[56:57]
	v_mul_f64 v[68:69], v[76:77], v[66:67]
	v_fma_f64 v[43:44], s[20:21], v[43:44], v[76:77]
	v_mul_f64 v[55:56], v[62:63], v[56:57]
	v_mul_f64 v[49:50], s[20:21], v[49:50]
	;; [unrolled: 1-line block ×5, first 2 shown]
	v_fma_f64 v[58:59], v[59:60], v[49:50], -v[68:69]
	v_fma_f64 v[51:52], v[74:75], v[72:73], v[51:52]
	v_mul_f64 v[72:73], v[70:71], v[78:79]
	v_fma_f64 v[43:44], v[64:65], v[49:50], -v[43:44]
	v_mul_f64 v[47:48], v[58:59], v[47:48]
	v_mul_f64 v[74:75], v[26:27], v[51:52]
	;; [unrolled: 1-line block ×5, first 2 shown]
	v_fma_f64 v[66:67], v[28:29], v[72:73], v[74:75]
	v_fma_f64 v[68:69], v[30:31], v[72:73], v[76:77]
	;; [unrolled: 1-line block ×12, first 2 shown]
	v_add_f64 v[45:46], v[45:46], v[0:1]
	v_add_f64 v[39:40], v[39:40], v[2:3]
	;; [unrolled: 1-line block ×3, first 2 shown]
.LBB0_108:                              ;   in Loop: Header=BB0_95 Depth=1
	s_or_b32 exec_lo, exec_lo, s5
.LBB0_109:                              ;   in Loop: Header=BB0_95 Depth=1
	s_or_b32 exec_lo, exec_lo, s4
	global_load_dwordx2 v[2:3], v[32:33], off offset:48
	s_mov_b32 s2, 0
.LBB0_110:                              ;   Parent Loop BB0_95 Depth=1
                                        ; =>  This Inner Loop Header: Depth=2
	s_waitcnt vmcnt(0)
	v_add_f64 v[0:1], v[2:3], v[45:46]
	global_atomic_cmpswap_x2 v[0:1], v[32:33], v[0:3], off offset:48 glc
	s_waitcnt vmcnt(0)
	v_cmp_eq_u64_e32 vcc_lo, v[0:1], v[2:3]
	v_mov_b32_e32 v3, v1
	v_mov_b32_e32 v2, v0
	s_or_b32 s2, vcc_lo, s2
	s_andn2_b32 exec_lo, exec_lo, s2
	s_cbranch_execnz .LBB0_110
; %bb.111:                              ;   in Loop: Header=BB0_95 Depth=1
	s_or_b32 exec_lo, exec_lo, s2
	global_load_dwordx2 v[2:3], v[14:15], off offset:48
	s_mov_b32 s2, 0
.LBB0_112:                              ;   Parent Loop BB0_95 Depth=1
                                        ; =>  This Inner Loop Header: Depth=2
	s_waitcnt vmcnt(0)
	v_add_f64 v[0:1], v[2:3], -v[45:46]
	global_atomic_cmpswap_x2 v[0:1], v[14:15], v[0:3], off offset:48 glc
	s_waitcnt vmcnt(0)
	v_cmp_eq_u64_e32 vcc_lo, v[0:1], v[2:3]
	v_mov_b32_e32 v3, v1
	v_mov_b32_e32 v2, v0
	s_or_b32 s2, vcc_lo, s2
	s_andn2_b32 exec_lo, exec_lo, s2
	s_cbranch_execnz .LBB0_112
; %bb.113:                              ;   in Loop: Header=BB0_95 Depth=1
	s_or_b32 exec_lo, exec_lo, s2
	global_load_dwordx2 v[2:3], v[32:33], off offset:56
	s_mov_b32 s2, 0
.LBB0_114:                              ;   Parent Loop BB0_95 Depth=1
                                        ; =>  This Inner Loop Header: Depth=2
	s_waitcnt vmcnt(0)
	v_add_f64 v[0:1], v[2:3], v[39:40]
	global_atomic_cmpswap_x2 v[0:1], v[32:33], v[0:3], off offset:56 glc
	s_waitcnt vmcnt(0)
	v_cmp_eq_u64_e32 vcc_lo, v[0:1], v[2:3]
	v_mov_b32_e32 v3, v1
	v_mov_b32_e32 v2, v0
	s_or_b32 s2, vcc_lo, s2
	s_andn2_b32 exec_lo, exec_lo, s2
	s_cbranch_execnz .LBB0_114
; %bb.115:                              ;   in Loop: Header=BB0_95 Depth=1
	s_or_b32 exec_lo, exec_lo, s2
	global_load_dwordx2 v[2:3], v[14:15], off offset:56
	s_mov_b32 s2, 0
.LBB0_116:                              ;   Parent Loop BB0_95 Depth=1
                                        ; =>  This Inner Loop Header: Depth=2
	s_waitcnt vmcnt(0)
	v_add_f64 v[0:1], v[2:3], -v[39:40]
	global_atomic_cmpswap_x2 v[0:1], v[14:15], v[0:3], off offset:56 glc
	s_waitcnt vmcnt(0)
	v_cmp_eq_u64_e32 vcc_lo, v[0:1], v[2:3]
	v_mov_b32_e32 v3, v1
	v_mov_b32_e32 v2, v0
	s_or_b32 s2, vcc_lo, s2
	s_andn2_b32 exec_lo, exec_lo, s2
	s_cbranch_execnz .LBB0_116
; %bb.117:                              ;   in Loop: Header=BB0_95 Depth=1
	s_or_b32 exec_lo, exec_lo, s2
	global_load_dwordx2 v[2:3], v[32:33], off offset:64
	s_mov_b32 s2, 0
.LBB0_118:                              ;   Parent Loop BB0_95 Depth=1
                                        ; =>  This Inner Loop Header: Depth=2
	s_waitcnt vmcnt(0)
	v_add_f64 v[0:1], v[2:3], v[37:38]
	global_atomic_cmpswap_x2 v[0:1], v[32:33], v[0:3], off offset:64 glc
	s_waitcnt vmcnt(0)
	v_cmp_eq_u64_e32 vcc_lo, v[0:1], v[2:3]
	v_mov_b32_e32 v3, v1
	v_mov_b32_e32 v2, v0
	s_or_b32 s2, vcc_lo, s2
	s_andn2_b32 exec_lo, exec_lo, s2
	s_cbranch_execnz .LBB0_118
; %bb.119:                              ;   in Loop: Header=BB0_95 Depth=1
	s_or_b32 exec_lo, exec_lo, s2
	global_load_dwordx2 v[2:3], v[14:15], off offset:64
	s_mov_b32 s2, 0
.LBB0_120:                              ;   Parent Loop BB0_95 Depth=1
                                        ; =>  This Inner Loop Header: Depth=2
	s_waitcnt vmcnt(0)
	v_add_f64 v[0:1], v[2:3], -v[37:38]
	global_atomic_cmpswap_x2 v[0:1], v[14:15], v[0:3], off offset:64 glc
	s_waitcnt vmcnt(0)
	v_cmp_eq_u64_e32 vcc_lo, v[0:1], v[2:3]
	v_mov_b32_e32 v3, v1
	v_mov_b32_e32 v2, v0
	s_or_b32 s2, vcc_lo, s2
	s_andn2_b32 exec_lo, exec_lo, s2
	s_cbranch_execnz .LBB0_120
	s_branch .LBB0_94
.LBB0_121:
	s_endpgm
	.section	.rodata,"a",@progbits
	.p2align	6, 0x0
	.amdhsa_kernel _Z20calculateForceKernelP6atom_tidPKdS2_idiid
		.amdhsa_group_segment_fixed_size 0
		.amdhsa_private_segment_fixed_size 0
		.amdhsa_kernarg_size 328
		.amdhsa_user_sgpr_count 6
		.amdhsa_user_sgpr_private_segment_buffer 1
		.amdhsa_user_sgpr_dispatch_ptr 0
		.amdhsa_user_sgpr_queue_ptr 0
		.amdhsa_user_sgpr_kernarg_segment_ptr 1
		.amdhsa_user_sgpr_dispatch_id 0
		.amdhsa_user_sgpr_flat_scratch_init 0
		.amdhsa_user_sgpr_private_segment_size 0
		.amdhsa_wavefront_size32 1
		.amdhsa_uses_dynamic_stack 0
		.amdhsa_system_sgpr_private_segment_wavefront_offset 0
		.amdhsa_system_sgpr_workgroup_id_x 1
		.amdhsa_system_sgpr_workgroup_id_y 0
		.amdhsa_system_sgpr_workgroup_id_z 0
		.amdhsa_system_sgpr_workgroup_info 0
		.amdhsa_system_vgpr_workitem_id 0
		.amdhsa_next_free_vgpr 82
		.amdhsa_next_free_sgpr 105
		.amdhsa_reserve_vcc 1
		.amdhsa_reserve_flat_scratch 0
		.amdhsa_float_round_mode_32 0
		.amdhsa_float_round_mode_16_64 0
		.amdhsa_float_denorm_mode_32 3
		.amdhsa_float_denorm_mode_16_64 3
		.amdhsa_dx10_clamp 1
		.amdhsa_ieee_mode 1
		.amdhsa_fp16_overflow 0
		.amdhsa_workgroup_processor_mode 1
		.amdhsa_memory_ordered 1
		.amdhsa_forward_progress 1
		.amdhsa_shared_vgpr_count 0
		.amdhsa_exception_fp_ieee_invalid_op 0
		.amdhsa_exception_fp_denorm_src 0
		.amdhsa_exception_fp_ieee_div_zero 0
		.amdhsa_exception_fp_ieee_overflow 0
		.amdhsa_exception_fp_ieee_underflow 0
		.amdhsa_exception_fp_ieee_inexact 0
		.amdhsa_exception_int_div_zero 0
	.end_amdhsa_kernel
	.text
.Lfunc_end0:
	.size	_Z20calculateForceKernelP6atom_tidPKdS2_idiid, .Lfunc_end0-_Z20calculateForceKernelP6atom_tidPKdS2_idiid
                                        ; -- End function
	.set _Z20calculateForceKernelP6atom_tidPKdS2_idiid.num_vgpr, 82
	.set _Z20calculateForceKernelP6atom_tidPKdS2_idiid.num_agpr, 0
	.set _Z20calculateForceKernelP6atom_tidPKdS2_idiid.numbered_sgpr, 105
	.set _Z20calculateForceKernelP6atom_tidPKdS2_idiid.num_named_barrier, 0
	.set _Z20calculateForceKernelP6atom_tidPKdS2_idiid.private_seg_size, 0
	.set _Z20calculateForceKernelP6atom_tidPKdS2_idiid.uses_vcc, 1
	.set _Z20calculateForceKernelP6atom_tidPKdS2_idiid.uses_flat_scratch, 0
	.set _Z20calculateForceKernelP6atom_tidPKdS2_idiid.has_dyn_sized_stack, 0
	.set _Z20calculateForceKernelP6atom_tidPKdS2_idiid.has_recursion, 0
	.set _Z20calculateForceKernelP6atom_tidPKdS2_idiid.has_indirect_call, 0
	.section	.AMDGPU.csdata,"",@progbits
; Kernel info:
; codeLenInByte = 12080
; TotalNumSgprs: 107
; NumVgprs: 82
; ScratchSize: 0
; MemoryBound: 1
; FloatMode: 240
; IeeeMode: 1
; LDSByteSize: 0 bytes/workgroup (compile time only)
; SGPRBlocks: 0
; VGPRBlocks: 10
; NumSGPRsForWavesPerEU: 107
; NumVGPRsForWavesPerEU: 82
; Occupancy: 10
; WaveLimiterHint : 1
; COMPUTE_PGM_RSRC2:SCRATCH_EN: 0
; COMPUTE_PGM_RSRC2:USER_SGPR: 6
; COMPUTE_PGM_RSRC2:TRAP_HANDLER: 0
; COMPUTE_PGM_RSRC2:TGID_X_EN: 1
; COMPUTE_PGM_RSRC2:TGID_Y_EN: 0
; COMPUTE_PGM_RSRC2:TGID_Z_EN: 0
; COMPUTE_PGM_RSRC2:TIDIG_COMP_CNT: 0
	.text
	.p2alignl 6, 3214868480
	.fill 48, 4, 3214868480
	.section	.AMDGPU.gpr_maximums,"",@progbits
	.set amdgpu.max_num_vgpr, 0
	.set amdgpu.max_num_agpr, 0
	.set amdgpu.max_num_sgpr, 0
	.text
	.type	__hip_cuid_56d208da840413aa,@object ; @__hip_cuid_56d208da840413aa
	.section	.bss,"aw",@nobits
	.globl	__hip_cuid_56d208da840413aa
__hip_cuid_56d208da840413aa:
	.byte	0                               ; 0x0
	.size	__hip_cuid_56d208da840413aa, 1

	.ident	"AMD clang version 22.0.0git (https://github.com/RadeonOpenCompute/llvm-project roc-7.2.4 26084 f58b06dce1f9c15707c5f808fd002e18c2accf7e)"
	.section	".note.GNU-stack","",@progbits
	.addrsig
	.addrsig_sym __hip_cuid_56d208da840413aa
	.amdgpu_metadata
---
amdhsa.kernels:
  - .args:
      - .address_space:  global
        .offset:         0
        .size:           8
        .value_kind:     global_buffer
      - .offset:         8
        .size:           4
        .value_kind:     by_value
      - .offset:         16
        .size:           8
        .value_kind:     by_value
      - .actual_access:  read_only
        .address_space:  global
        .offset:         24
        .size:           8
        .value_kind:     global_buffer
      - .actual_access:  read_only
        .address_space:  global
        .offset:         32
        .size:           8
        .value_kind:     global_buffer
      - .offset:         40
        .size:           4
        .value_kind:     by_value
      - .offset:         48
        .size:           8
        .value_kind:     by_value
      - .offset:         56
        .size:           4
        .value_kind:     by_value
      - .offset:         60
        .size:           4
        .value_kind:     by_value
      - .offset:         64
        .size:           8
        .value_kind:     by_value
      - .offset:         72
        .size:           4
        .value_kind:     hidden_block_count_x
      - .offset:         76
        .size:           4
        .value_kind:     hidden_block_count_y
      - .offset:         80
        .size:           4
        .value_kind:     hidden_block_count_z
      - .offset:         84
        .size:           2
        .value_kind:     hidden_group_size_x
      - .offset:         86
        .size:           2
        .value_kind:     hidden_group_size_y
      - .offset:         88
        .size:           2
        .value_kind:     hidden_group_size_z
      - .offset:         90
        .size:           2
        .value_kind:     hidden_remainder_x
      - .offset:         92
        .size:           2
        .value_kind:     hidden_remainder_y
      - .offset:         94
        .size:           2
        .value_kind:     hidden_remainder_z
      - .offset:         112
        .size:           8
        .value_kind:     hidden_global_offset_x
      - .offset:         120
        .size:           8
        .value_kind:     hidden_global_offset_y
      - .offset:         128
        .size:           8
        .value_kind:     hidden_global_offset_z
      - .offset:         136
        .size:           2
        .value_kind:     hidden_grid_dims
    .group_segment_fixed_size: 0
    .kernarg_segment_align: 8
    .kernarg_segment_size: 328
    .language:       OpenCL C
    .language_version:
      - 2
      - 0
    .max_flat_workgroup_size: 1024
    .name:           _Z20calculateForceKernelP6atom_tidPKdS2_idiid
    .private_segment_fixed_size: 0
    .sgpr_count:     107
    .sgpr_spill_count: 49
    .symbol:         _Z20calculateForceKernelP6atom_tidPKdS2_idiid.kd
    .uniform_work_group_size: 1
    .uses_dynamic_stack: false
    .vgpr_count:     82
    .vgpr_spill_count: 0
    .wavefront_size: 32
    .workgroup_processor_mode: 1
amdhsa.target:   amdgcn-amd-amdhsa--gfx1030
amdhsa.version:
  - 1
  - 2
...

	.end_amdgpu_metadata
